;; amdgpu-corpus repo=ROCm/rocFFT kind=compiled arch=gfx950 opt=O3
	.text
	.amdgcn_target "amdgcn-amd-amdhsa--gfx950"
	.amdhsa_code_object_version 6
	.protected	fft_rtc_fwd_len1875_factors_5_5_5_5_3_wgs_250_tpt_125_halfLds_sp_op_CI_CI_sbrr_dirReg ; -- Begin function fft_rtc_fwd_len1875_factors_5_5_5_5_3_wgs_250_tpt_125_halfLds_sp_op_CI_CI_sbrr_dirReg
	.globl	fft_rtc_fwd_len1875_factors_5_5_5_5_3_wgs_250_tpt_125_halfLds_sp_op_CI_CI_sbrr_dirReg
	.p2align	8
	.type	fft_rtc_fwd_len1875_factors_5_5_5_5_3_wgs_250_tpt_125_halfLds_sp_op_CI_CI_sbrr_dirReg,@function
fft_rtc_fwd_len1875_factors_5_5_5_5_3_wgs_250_tpt_125_halfLds_sp_op_CI_CI_sbrr_dirReg: ; @fft_rtc_fwd_len1875_factors_5_5_5_5_3_wgs_250_tpt_125_halfLds_sp_op_CI_CI_sbrr_dirReg
; %bb.0:
	s_load_dwordx4 s[12:15], s[0:1], 0x18
	s_load_dwordx4 s[8:11], s[0:1], 0x0
	;; [unrolled: 1-line block ×3, first 2 shown]
	v_mul_u32_u24_e32 v1, 0x20d, v0
	v_lshrrev_b32_e32 v63, 16, v1
	s_waitcnt lgkmcnt(0)
	s_load_dwordx2 s[18:19], s[12:13], 0x0
	s_load_dwordx2 s[16:17], s[14:15], 0x0
	v_lshl_add_u32 v4, s2, 1, v63
	v_mov_b32_e32 v2, 0
	v_cmp_lt_u64_e64 s[2:3], s[10:11], 2
	v_mov_b32_e32 v5, v2
	s_and_b64 vcc, exec, s[2:3]
	v_mov_b64_e32 v[34:35], 0
	s_cbranch_vccnz .LBB0_8
; %bb.1:
	s_load_dwordx2 s[2:3], s[0:1], 0x10
	s_add_u32 s20, s14, 8
	s_addc_u32 s21, s15, 0
	s_add_u32 s22, s12, 8
	s_addc_u32 s23, s13, 0
	s_waitcnt lgkmcnt(0)
	s_add_u32 s24, s2, 8
	v_mov_b64_e32 v[34:35], 0
	s_addc_u32 s25, s3, 0
	s_mov_b64 s[26:27], 1
	v_mov_b64_e32 v[12:13], v[34:35]
.LBB0_2:                                ; =>This Inner Loop Header: Depth=1
	s_load_dwordx2 s[28:29], s[24:25], 0x0
                                        ; implicit-def: $vgpr14_vgpr15
	s_waitcnt lgkmcnt(0)
	v_or_b32_e32 v3, s29, v5
	v_cmp_ne_u64_e32 vcc, 0, v[2:3]
	s_and_saveexec_b64 s[2:3], vcc
	s_xor_b64 s[30:31], exec, s[2:3]
	s_cbranch_execz .LBB0_4
; %bb.3:                                ;   in Loop: Header=BB0_2 Depth=1
	v_cvt_f32_u32_e32 v1, s28
	v_cvt_f32_u32_e32 v3, s29
	s_sub_u32 s2, 0, s28
	s_subb_u32 s3, 0, s29
	v_fmac_f32_e32 v1, 0x4f800000, v3
	v_rcp_f32_e32 v1, v1
	s_nop 0
	v_mul_f32_e32 v1, 0x5f7ffffc, v1
	v_mul_f32_e32 v3, 0x2f800000, v1
	v_trunc_f32_e32 v3, v3
	v_fmac_f32_e32 v1, 0xcf800000, v3
	v_cvt_u32_f32_e32 v3, v3
	v_cvt_u32_f32_e32 v1, v1
	v_mul_lo_u32 v6, s2, v3
	v_mul_hi_u32 v8, s2, v1
	v_mul_lo_u32 v7, s3, v1
	v_add_u32_e32 v8, v8, v6
	v_mul_lo_u32 v10, s2, v1
	v_add_u32_e32 v11, v8, v7
	v_mul_hi_u32 v6, v1, v10
	v_mul_hi_u32 v9, v1, v11
	v_mul_lo_u32 v8, v1, v11
	v_mov_b32_e32 v7, v2
	v_lshl_add_u64 v[6:7], v[6:7], 0, v[8:9]
	v_mul_hi_u32 v9, v3, v10
	v_mul_lo_u32 v10, v3, v10
	v_add_co_u32_e32 v6, vcc, v6, v10
	v_mul_hi_u32 v8, v3, v11
	s_nop 0
	v_addc_co_u32_e32 v6, vcc, v7, v9, vcc
	v_mov_b32_e32 v7, v2
	s_nop 0
	v_addc_co_u32_e32 v9, vcc, 0, v8, vcc
	v_mul_lo_u32 v8, v3, v11
	v_lshl_add_u64 v[6:7], v[6:7], 0, v[8:9]
	v_add_co_u32_e32 v1, vcc, v1, v6
	v_mul_lo_u32 v8, s2, v1
	s_nop 0
	v_addc_co_u32_e32 v3, vcc, v3, v7, vcc
	v_mul_lo_u32 v6, s2, v3
	v_mul_hi_u32 v7, s2, v1
	v_add_u32_e32 v6, v7, v6
	v_mul_lo_u32 v7, s3, v1
	v_add_u32_e32 v10, v6, v7
	v_mul_hi_u32 v14, v3, v8
	v_mul_lo_u32 v15, v3, v8
	v_mul_hi_u32 v7, v1, v10
	v_mul_lo_u32 v6, v1, v10
	v_mul_hi_u32 v8, v1, v8
	v_mov_b32_e32 v9, v2
	v_lshl_add_u64 v[6:7], v[8:9], 0, v[6:7]
	v_add_co_u32_e32 v6, vcc, v6, v15
	v_mul_hi_u32 v11, v3, v10
	s_nop 0
	v_addc_co_u32_e32 v6, vcc, v7, v14, vcc
	v_mul_lo_u32 v8, v3, v10
	s_nop 0
	v_addc_co_u32_e32 v9, vcc, 0, v11, vcc
	v_mov_b32_e32 v7, v2
	v_lshl_add_u64 v[6:7], v[6:7], 0, v[8:9]
	v_add_co_u32_e32 v1, vcc, v1, v6
	v_mul_hi_u32 v8, v4, v1
	s_nop 0
	v_addc_co_u32_e32 v3, vcc, v3, v7, vcc
	v_mad_u64_u32 v[6:7], s[2:3], v4, v3, 0
	v_mov_b32_e32 v9, v2
	v_lshl_add_u64 v[6:7], v[8:9], 0, v[6:7]
	v_mad_u64_u32 v[10:11], s[2:3], v5, v1, 0
	v_add_co_u32_e32 v1, vcc, v6, v10
	v_mad_u64_u32 v[8:9], s[2:3], v5, v3, 0
	s_nop 0
	v_addc_co_u32_e32 v6, vcc, v7, v11, vcc
	v_mov_b32_e32 v7, v2
	s_nop 0
	v_addc_co_u32_e32 v9, vcc, 0, v9, vcc
	v_lshl_add_u64 v[6:7], v[6:7], 0, v[8:9]
	v_mul_lo_u32 v1, s29, v6
	v_mul_lo_u32 v3, s28, v7
	v_mad_u64_u32 v[8:9], s[2:3], s28, v6, 0
	v_add3_u32 v1, v9, v3, v1
	v_sub_u32_e32 v3, v5, v1
	v_mov_b32_e32 v9, s29
	v_sub_co_u32_e32 v14, vcc, v4, v8
	v_lshl_add_u64 v[10:11], v[6:7], 0, 1
	s_nop 0
	v_subb_co_u32_e64 v3, s[2:3], v3, v9, vcc
	v_subrev_co_u32_e64 v8, s[2:3], s28, v14
	v_subb_co_u32_e32 v1, vcc, v5, v1, vcc
	s_nop 0
	v_subbrev_co_u32_e64 v3, s[2:3], 0, v3, s[2:3]
	v_cmp_le_u32_e64 s[2:3], s29, v3
	v_cmp_le_u32_e32 vcc, s29, v1
	s_nop 0
	v_cndmask_b32_e64 v9, 0, -1, s[2:3]
	v_cmp_le_u32_e64 s[2:3], s28, v8
	s_nop 1
	v_cndmask_b32_e64 v8, 0, -1, s[2:3]
	v_cmp_eq_u32_e64 s[2:3], s29, v3
	s_nop 1
	v_cndmask_b32_e64 v3, v9, v8, s[2:3]
	v_lshl_add_u64 v[8:9], v[6:7], 0, 2
	v_cmp_ne_u32_e64 s[2:3], 0, v3
	s_nop 1
	v_cndmask_b32_e64 v3, v11, v9, s[2:3]
	v_cndmask_b32_e64 v9, 0, -1, vcc
	v_cmp_le_u32_e32 vcc, s28, v14
	s_nop 1
	v_cndmask_b32_e64 v11, 0, -1, vcc
	v_cmp_eq_u32_e32 vcc, s29, v1
	s_nop 1
	v_cndmask_b32_e32 v1, v9, v11, vcc
	v_cmp_ne_u32_e32 vcc, 0, v1
	v_cndmask_b32_e64 v1, v10, v8, s[2:3]
	s_nop 0
	v_cndmask_b32_e32 v15, v7, v3, vcc
	v_cndmask_b32_e32 v14, v6, v1, vcc
.LBB0_4:                                ;   in Loop: Header=BB0_2 Depth=1
	s_andn2_saveexec_b64 s[2:3], s[30:31]
	s_cbranch_execz .LBB0_6
; %bb.5:                                ;   in Loop: Header=BB0_2 Depth=1
	v_cvt_f32_u32_e32 v1, s28
	s_sub_i32 s30, 0, s28
	v_mov_b32_e32 v15, v2
	v_rcp_iflag_f32_e32 v1, v1
	s_nop 0
	v_mul_f32_e32 v1, 0x4f7ffffe, v1
	v_cvt_u32_f32_e32 v1, v1
	v_mul_lo_u32 v3, s30, v1
	v_mul_hi_u32 v3, v1, v3
	v_add_u32_e32 v1, v1, v3
	v_mul_hi_u32 v1, v4, v1
	v_mul_lo_u32 v3, v1, s28
	v_sub_u32_e32 v3, v4, v3
	v_add_u32_e32 v6, 1, v1
	v_subrev_u32_e32 v7, s28, v3
	v_cmp_le_u32_e32 vcc, s28, v3
	s_nop 1
	v_cndmask_b32_e32 v3, v3, v7, vcc
	v_cndmask_b32_e32 v1, v1, v6, vcc
	v_add_u32_e32 v6, 1, v1
	v_cmp_le_u32_e32 vcc, s28, v3
	s_nop 1
	v_cndmask_b32_e32 v14, v1, v6, vcc
.LBB0_6:                                ;   in Loop: Header=BB0_2 Depth=1
	s_or_b64 exec, exec, s[2:3]
	v_mad_u64_u32 v[6:7], s[2:3], v14, s28, 0
	s_load_dwordx2 s[2:3], s[22:23], 0x0
	v_mul_lo_u32 v1, v15, s28
	v_mul_lo_u32 v3, v14, s29
	s_load_dwordx2 s[28:29], s[20:21], 0x0
	s_add_u32 s26, s26, 1
	v_add3_u32 v1, v7, v3, v1
	v_sub_co_u32_e32 v3, vcc, v4, v6
	s_addc_u32 s27, s27, 0
	s_nop 0
	v_subb_co_u32_e32 v1, vcc, v5, v1, vcc
	s_add_u32 s20, s20, 8
	s_waitcnt lgkmcnt(0)
	v_mul_lo_u32 v4, s2, v1
	v_mul_lo_u32 v5, s3, v3
	v_mad_u64_u32 v[34:35], s[2:3], s2, v3, v[34:35]
	s_addc_u32 s21, s21, 0
	v_add3_u32 v35, v5, v35, v4
	v_mul_lo_u32 v1, s28, v1
	v_mul_lo_u32 v4, s29, v3
	v_mad_u64_u32 v[12:13], s[2:3], s28, v3, v[12:13]
	s_add_u32 s22, s22, 8
	v_add3_u32 v13, v4, v13, v1
	s_addc_u32 s23, s23, 0
	v_mov_b64_e32 v[4:5], s[10:11]
	s_add_u32 s24, s24, 8
	v_cmp_ge_u64_e32 vcc, s[26:27], v[4:5]
	s_addc_u32 s25, s25, 0
	s_cbranch_vccnz .LBB0_9
; %bb.7:                                ;   in Loop: Header=BB0_2 Depth=1
	v_mov_b64_e32 v[4:5], v[14:15]
	s_branch .LBB0_2
.LBB0_8:
	v_mov_b64_e32 v[12:13], v[34:35]
	v_mov_b64_e32 v[14:15], v[4:5]
.LBB0_9:
	s_load_dwordx2 s[0:1], s[0:1], 0x28
	s_lshl_b64 s[10:11], s[10:11], 3
	s_add_u32 s2, s14, s10
	s_addc_u32 s3, s15, s11
                                        ; implicit-def: $vgpr58
                                        ; implicit-def: $vgpr60
                                        ; implicit-def: $vgpr62
                                        ; implicit-def: $vgpr59
                                        ; implicit-def: $vgpr61
	s_waitcnt lgkmcnt(0)
	v_cmp_gt_u64_e32 vcc, s[0:1], v[14:15]
	v_cmp_le_u64_e64 s[0:1], s[0:1], v[14:15]
	s_and_saveexec_b64 s[14:15], s[0:1]
	s_xor_b64 s[0:1], exec, s[14:15]
; %bb.10:
	s_mov_b32 s14, 0x20c49bb
	v_mul_hi_u32 v1, v0, s14
	v_mul_u32_u24_e32 v1, 0x7d, v1
	v_sub_u32_e32 v58, v0, v1
	v_add_u32_e32 v60, 0x7d, v58
	v_add_u32_e32 v62, 0xfa, v58
	;; [unrolled: 1-line block ×4, first 2 shown]
                                        ; implicit-def: $vgpr0
                                        ; implicit-def: $vgpr34_vgpr35
; %bb.11:
	s_or_saveexec_b64 s[0:1], s[0:1]
                                        ; implicit-def: $vgpr24
                                        ; implicit-def: $vgpr26
                                        ; implicit-def: $vgpr30
                                        ; implicit-def: $vgpr36
                                        ; implicit-def: $vgpr50
                                        ; implicit-def: $vgpr56
                                        ; implicit-def: $vgpr4
                                        ; implicit-def: $vgpr6
                                        ; implicit-def: $vgpr10
                                        ; implicit-def: $vgpr16
                                        ; implicit-def: $vgpr20
                                        ; implicit-def: $vgpr22
                                        ; implicit-def: $vgpr2
                                        ; implicit-def: $vgpr8
                                        ; implicit-def: $vgpr18
                                        ; implicit-def: $vgpr52
                                        ; implicit-def: $vgpr32
                                        ; implicit-def: $vgpr28
	s_xor_b64 exec, exec, s[0:1]
	s_cbranch_execz .LBB0_13
; %bb.12:
	s_add_u32 s10, s12, s10
	s_addc_u32 s11, s13, s11
	s_load_dwordx2 s[10:11], s[10:11], 0x0
	s_mov_b32 s12, 0x20c49bb
	s_waitcnt lgkmcnt(0)
	v_mul_lo_u32 v1, s11, v14
	v_mul_lo_u32 v4, s10, v15
	v_mad_u64_u32 v[2:3], s[10:11], s10, v14, 0
	v_add3_u32 v3, v3, v4, v1
	v_mul_hi_u32 v1, v0, s12
	v_mul_u32_u24_e32 v1, 0x7d, v1
	v_sub_u32_e32 v58, v0, v1
	v_mad_u64_u32 v[0:1], s[10:11], s18, v58, 0
	v_mov_b32_e32 v4, v1
	v_mad_u64_u32 v[4:5], s[10:11], s19, v58, v[4:5]
	v_lshl_add_u64 v[2:3], v[2:3], 3, s[4:5]
	v_add_u32_e32 v59, 0x177, v58
	v_mov_b32_e32 v1, v4
	v_lshl_add_u64 v[4:5], v[34:35], 3, v[2:3]
	v_mad_u64_u32 v[2:3], s[4:5], s18, v59, 0
	v_mov_b32_e32 v6, v3
	v_mad_u64_u32 v[6:7], s[4:5], s19, v59, v[6:7]
	v_mov_b32_e32 v3, v6
	v_add_u32_e32 v9, 0x2ee, v58
	v_lshl_add_u64 v[6:7], v[2:3], 3, v[4:5]
	v_mad_u64_u32 v[2:3], s[4:5], s18, v9, 0
	v_mov_b32_e32 v8, v3
	v_mad_u64_u32 v[8:9], s[4:5], s19, v9, v[8:9]
	v_mov_b32_e32 v3, v8
	v_add_u32_e32 v11, 0x465, v58
	;; [unrolled: 6-line block ×6, first 2 shown]
	v_lshl_add_u64 v[22:23], v[2:3], 3, v[4:5]
	v_mad_u64_u32 v[2:3], s[4:5], s18, v19, 0
	v_mov_b32_e32 v18, v3
	v_mad_u64_u32 v[18:19], s[4:5], s19, v19, v[18:19]
	v_add_u32_e32 v25, 0x659, v58
	v_mov_b32_e32 v3, v18
	v_mad_u64_u32 v[18:19], s[4:5], s18, v25, 0
	v_mov_b32_e32 v24, v19
	v_mad_u64_u32 v[24:25], s[4:5], s19, v25, v[24:25]
	v_add_u32_e32 v62, 0xfa, v58
	v_mov_b32_e32 v19, v24
	;; [unrolled: 5-line block ×3, first 2 shown]
	v_mad_u64_u32 v[26:27], s[4:5], s18, v29, 0
	v_mov_b32_e32 v28, v27
	v_mad_u64_u32 v[28:29], s[4:5], s19, v29, v[28:29]
	v_lshl_add_u64 v[2:3], v[2:3], 3, v[4:5]
	v_lshl_add_u64 v[18:19], v[18:19], 3, v[4:5]
	v_mov_b32_e32 v27, v28
	v_lshl_add_u64 v[24:25], v[24:25], 3, v[4:5]
	v_lshl_add_u64 v[28:29], v[26:27], 3, v[4:5]
	global_load_dwordx2 v[30:31], v[2:3], off
	global_load_dwordx2 v[32:33], v[18:19], off
	global_load_dwordx2 v[26:27], v[24:25], off
	global_load_dwordx2 v[34:35], v[28:29], off
	v_add_u32_e32 v19, 0x3e8, v58
	v_mad_u64_u32 v[2:3], s[4:5], s18, v19, 0
	v_mov_b32_e32 v18, v3
	v_mad_u64_u32 v[18:19], s[4:5], s19, v19, v[18:19]
	v_mov_b32_e32 v3, v18
	v_add_u32_e32 v19, 0x55f, v58
	v_lshl_add_u64 v[38:39], v[2:3], 3, v[4:5]
	v_mad_u64_u32 v[2:3], s[4:5], s18, v19, 0
	v_mov_b32_e32 v18, v3
	v_mad_u64_u32 v[18:19], s[4:5], s19, v19, v[18:19]
	v_mov_b32_e32 v3, v18
	v_add_u32_e32 v19, 0x6d6, v58
	v_lshl_add_u64 v[40:41], v[2:3], 3, v[4:5]
	v_mad_u64_u32 v[2:3], s[4:5], s18, v19, 0
	v_mov_b32_e32 v18, v3
	v_mad_u64_u32 v[18:19], s[4:5], s19, v19, v[18:19]
	v_mov_b32_e32 v3, v18
	v_lshl_add_u64 v[0:1], v[0:1], 3, v[4:5]
	v_lshl_add_u64 v[42:43], v[2:3], 3, v[4:5]
	global_load_dwordx2 v[2:3], v[38:39], off
	global_load_dwordx2 v[24:25], v[40:41], off
	;; [unrolled: 1-line block ×10, first 2 shown]
	v_add_u32_e32 v7, 0x36b, v58
	v_mad_u64_u32 v[0:1], s[4:5], s18, v7, 0
	v_mov_b32_e32 v6, v1
	v_mad_u64_u32 v[6:7], s[4:5], s19, v7, v[6:7]
	v_mov_b32_e32 v1, v6
	v_lshl_add_u64 v[0:1], v[0:1], 3, v[4:5]
	global_load_dwordx2 v[8:9], v[0:1], off
	s_waitcnt vmcnt(14)
	v_mov_b32_e32 v17, v31
	s_waitcnt vmcnt(13)
	v_mov_b32_e32 v11, v33
	;; [unrolled: 2-line block ×11, first 2 shown]
	v_mov_b32_e32 v53, v46
	s_waitcnt vmcnt(1)
	v_mov_b32_e32 v23, v51
	v_mov_b32_e32 v33, v44
	;; [unrolled: 1-line block ×3, first 2 shown]
.LBB0_13:
	s_or_b64 exec, exec, s[0:1]
	s_mov_b32 s4, 0x3f737871
	v_add_f32_e32 v0, v23, v19
	s_mov_b32 s5, 0x3f167918
	v_fma_f32 v74, -0.5, v0, v22
	v_mov_b32_e32 v0, v53
	v_mov_b32_e32 v1, v18
	;; [unrolled: 1-line block ×4, first 2 shown]
	v_pk_add_f32 v[54:55], v[0:1], v[34:35] neg_lo:[0,1] neg_hi:[0,1]
	v_add_f32_e32 v0, v21, v20
	s_mov_b32 s0, s5
	s_mov_b32 s1, s4
	v_pk_add_f32 v[38:39], v[20:21], v[22:23]
	v_pk_add_f32 v[64:65], v[20:21], v[22:23] neg_lo:[0,1] neg_hi:[0,1]
	v_fmac_f32_e32 v22, -0.5, v0
	v_pk_mul_f32 v[34:35], v[54:55], s[0:1]
	v_mov_b32_e32 v42, v32
	v_add_f32_e32 v0, v35, v22
	v_sub_f32_e32 v1, v22, v35
	v_sub_f32_e32 v0, v0, v34
	v_add_f32_e32 v1, v34, v1
	s_waitcnt vmcnt(0)
	v_add_f32_e32 v22, v17, v9
	v_mov_b32_e32 v34, v33
	v_mov_b32_e32 v35, v8
	;; [unrolled: 1-line block ×3, first 2 shown]
	v_fma_f32 v75, -0.5, v22, v16
	v_pk_add_f32 v[42:43], v[34:35], v[42:43] neg_lo:[0,1] neg_hi:[0,1]
	v_add_f32_e32 v22, v11, v10
	v_pk_add_f32 v[40:41], v[10:11], v[16:17]
	v_pk_add_f32 v[66:67], v[10:11], v[16:17] neg_lo:[0,1] neg_hi:[0,1]
	v_fmac_f32_e32 v16, -0.5, v22
	v_pk_mul_f32 v[44:45], v[42:43], s[0:1]
	v_mov_b32_e32 v46, v28
	v_add_f32_e32 v22, v45, v16
	v_sub_f32_e32 v16, v16, v45
	v_sub_f32_e32 v34, v22, v44
	v_add_f32_e32 v35, v44, v16
	v_mov_b32_e32 v44, v29
	v_mov_b32_e32 v45, v2
	;; [unrolled: 1-line block ×3, first 2 shown]
	v_add_f32_e32 v16, v7, v3
	v_pk_add_f32 v[48:49], v[44:45], v[46:47] neg_lo:[0,1] neg_hi:[0,1]
	v_fma_f32 v76, -0.5, v16, v6
	v_add_f32_e32 v16, v5, v4
	v_pk_add_f32 v[46:47], v[4:5], v[6:7]
	v_pk_add_f32 v[68:69], v[4:5], v[6:7] neg_lo:[0,1] neg_hi:[0,1]
	v_fmac_f32_e32 v6, -0.5, v16
	v_pk_mul_f32 v[70:71], v[48:49], s[0:1]
	v_mov_b32_e32 v39, v65
	v_add_f32_e32 v16, v71, v6
	v_sub_f32_e32 v6, v6, v71
	v_add_f32_e32 v45, v70, v6
	v_add_f32_e32 v6, v50, v18
	v_mul_f32_e32 v65, 0.5, v6
	v_mov_b32_e32 v6, v53
	v_mov_b32_e32 v41, v67
	;; [unrolled: 1-line block ×3, first 2 shown]
	v_pk_add_f32 v[66:67], v[56:57], v[6:7] op_sel_hi:[1,0]
	v_add_f32_e32 v6, v52, v53
	v_mov_b32_e32 v47, v69
	v_pk_add_f32 v[64:65], v[56:57], v[64:65] op_sel_hi:[0,1] neg_lo:[0,1] neg_hi:[0,1]
	v_mov_b32_e32 v57, v56
	v_mov_b32_e32 v56, v20
	v_mul_f32_e32 v69, 0.5, v6
	v_mov_b32_e32 v68, v21
	v_sub_f32_e32 v44, v16, v70
	v_pk_add_f32 v[56:57], v[56:57], v[68:69] neg_lo:[0,1] neg_hi:[0,1]
	s_mov_b32 s10, s5
	v_sub_f32_e32 v16, v19, v23
	v_pk_mul_f32 v[68:69], v[56:57], s[10:11]
	v_mul_f32_e32 v71, 0x3f737871, v16
	v_mov_b32_e32 v70, 0x3f167918
	v_mov_b32_e32 v69, v68
	v_fmamk_f32 v68, v16, 0xbf737871, v57
	v_pk_add_f32 v[72:73], v[56:57], v[70:71]
	v_mov_b32_e32 v51, v18
	v_pk_add_f32 v[72:73], v[72:73], v[68:69] neg_lo:[0,1] neg_hi:[0,1]
	v_pk_fma_f32 v[68:69], v[56:57], v[70:71], v[68:69]
	v_mov_b32_e32 v67, v65
	v_mov_b32_e32 v69, v73
	v_pk_add_f32 v[72:73], v[50:51], v[52:53] neg_lo:[0,1] neg_hi:[0,1]
	v_and_b32_e32 v22, 1, v63
	v_add_f32_e32 v6, v72, v73
	v_mul_f32_e32 v6, 0x3e9e377a, v6
	v_mul_f32_e32 v73, 0x3f737871, v56
	v_mov_b32_e32 v72, v18
	v_pk_add_f32 v[68:69], v[6:7], v[68:69] op_sel_hi:[0,1]
	v_pk_add_f32 v[66:67], v[72:73], v[66:67]
	v_mul_f32_e32 v6, 0x3f167918, v16
	v_pk_add_f32 v[72:73], v[52:53], v[50:51] neg_lo:[0,1] neg_hi:[0,1]
	v_mov_b32_e32 v51, v6
	v_add_f32_e32 v6, v72, v73
	v_mov_b32_e32 v25, 0x1d4c
	v_cmp_eq_u32_e64 s[0:1], 1, v22
	v_pk_add_f32 v[50:51], v[50:51], v[66:67]
	v_mul_f32_e32 v53, 0x3e9e377a, v6
	v_fmac_f32_e32 v65, 0xbf737871, v56
	v_cndmask_b32_e64 v56, 0, v25, s[0:1]
	v_pk_add_f32 v[52:53], v[52:53], v[50:51]
	v_add_u32_e32 v50, 0, v56
	v_fmac_f32_e32 v65, 0xbf167918, v16
	v_mad_u32_u24 v57, v58, 20, v50
	v_fmac_f32_e32 v65, 0x3e9e377a, v6
	v_add_f32_e32 v6, v30, v8
	ds_write2_b32 v57, v52, v53 offset1:1
	ds_write2_b32 v57, v68, v69 offset0:2 offset1:3
	v_mul_f32_e32 v53, 0.5, v6
	v_mov_b32_e32 v6, v33
	ds_write_b32 v57, v65 offset:16
	v_mov_b32_e32 v52, v33
	v_pk_add_f32 v[64:65], v[36:37], v[6:7] op_sel_hi:[1,0]
	v_add_f32_e32 v6, v32, v33
	v_pk_add_f32 v[52:53], v[36:37], v[52:53] op_sel_hi:[0,1] neg_lo:[0,1] neg_hi:[0,1]
	v_mov_b32_e32 v37, v36
	v_mov_b32_e32 v36, v10
	v_mul_f32_e32 v67, 0.5, v6
	v_mov_b32_e32 v66, v11
	v_pk_add_f32 v[36:37], v[36:37], v[66:67] neg_lo:[0,1] neg_hi:[0,1]
	v_sub_f32_e32 v16, v9, v17
	v_mul_f32_e32 v71, 0x3f737871, v16
	v_pk_mul_f32 v[66:67], v[36:37], s[10:11]
	v_pk_add_f32 v[68:69], v[36:37], v[70:71]
	v_mov_b32_e32 v67, v66
	v_fmamk_f32 v66, v16, 0xbf737871, v37
	v_pk_add_f32 v[68:69], v[68:69], v[66:67] neg_lo:[0,1] neg_hi:[0,1]
	v_pk_fma_f32 v[66:67], v[36:37], v[70:71], v[66:67]
	v_mov_b32_e32 v31, v8
	v_mov_b32_e32 v67, v69
	v_pk_add_f32 v[68:69], v[30:31], v[32:33] neg_lo:[0,1] neg_hi:[0,1]
	v_mov_b32_e32 v65, v53
	v_add_f32_e32 v6, v68, v69
	v_mul_f32_e32 v6, 0x3e9e377a, v6
	v_mul_f32_e32 v69, 0x3f737871, v36
	v_mov_b32_e32 v68, v8
	v_pk_add_f32 v[66:67], v[6:7], v[66:67] op_sel_hi:[0,1]
	v_pk_add_f32 v[64:65], v[68:69], v[64:65]
	v_mul_f32_e32 v6, 0x3f167918, v16
	v_pk_add_f32 v[68:69], v[32:33], v[30:31] neg_lo:[0,1] neg_hi:[0,1]
	v_mov_b32_e32 v31, v6
	v_add_f32_e32 v6, v68, v69
	v_fmac_f32_e32 v53, 0xbf737871, v36
	v_pk_add_f32 v[30:31], v[30:31], v[64:65]
	v_mul_f32_e32 v33, 0x3e9e377a, v6
	v_fmac_f32_e32 v53, 0xbf167918, v16
	v_pk_add_f32 v[30:31], v[32:33], v[30:31]
	v_mad_i32_i24 v63, v60, 20, v50
	v_add_f32_e32 v16, v24, v2
	v_fmac_f32_e32 v53, 0x3e9e377a, v6
	v_mov_b32_e32 v6, v29
	ds_write2_b32 v63, v30, v31 offset1:1
	ds_write2_b32 v63, v66, v67 offset0:2 offset1:3
	v_mul_f32_e32 v31, 0.5, v16
	v_mov_b32_e32 v30, v29
	v_pk_add_f32 v[32:33], v[26:27], v[6:7] op_sel_hi:[1,0]
	v_add_f32_e32 v6, v28, v29
	v_pk_add_f32 v[30:31], v[26:27], v[30:31] op_sel_hi:[0,1] neg_lo:[0,1] neg_hi:[0,1]
	v_mov_b32_e32 v27, v26
	v_mov_b32_e32 v26, v4
	v_mul_f32_e32 v37, 0.5, v6
	v_mov_b32_e32 v36, v5
	v_pk_add_f32 v[26:27], v[26:27], v[36:37] neg_lo:[0,1] neg_hi:[0,1]
	v_sub_f32_e32 v16, v3, v7
	v_mul_f32_e32 v71, 0x3f737871, v16
	v_pk_mul_f32 v[36:37], v[26:27], s[10:11]
	ds_write_b32 v63, v53 offset:16
	v_mov_b32_e32 v37, v36
	v_fmamk_f32 v36, v16, 0xbf737871, v27
	v_pk_add_f32 v[52:53], v[26:27], v[70:71]
	v_pk_fma_f32 v[64:65], v[26:27], v[70:71], v[36:37]
	v_pk_add_f32 v[36:37], v[52:53], v[36:37] neg_lo:[0,1] neg_hi:[0,1]
	v_mov_b32_e32 v25, v2
	v_mov_b32_e32 v65, v37
	v_pk_add_f32 v[36:37], v[24:25], v[28:29] neg_lo:[0,1] neg_hi:[0,1]
	v_mov_b32_e32 v33, v31
	v_add_f32_e32 v6, v36, v37
	v_mul_f32_e32 v6, 0x3e9e377a, v6
	v_pk_add_f32 v[36:37], v[6:7], v[64:65] op_sel_hi:[0,1]
	v_mul_f32_e32 v53, 0x3f737871, v26
	v_mov_b32_e32 v52, v2
	v_mul_f32_e32 v6, 0x3f167918, v16
	v_pk_add_f32 v[32:33], v[52:53], v[32:33]
	v_pk_add_f32 v[52:53], v[28:29], v[24:25] neg_lo:[0,1] neg_hi:[0,1]
	v_mov_b32_e32 v25, v6
	v_pk_add_f32 v[24:25], v[24:25], v[32:33]
	v_pk_mul_f32 v[32:33], v[54:55], s[4:5]
	v_fmac_f32_e32 v31, 0xbf737871, v26
	v_sub_f32_e32 v6, v74, v32
	v_sub_f32_e32 v27, v6, v33
	v_add_f32_e32 v6, v52, v53
	v_mul_f32_e32 v29, 0x3e9e377a, v6
	v_pk_add_f32 v[24:25], v[28:29], v[24:25]
	v_mov_b32_e32 v29, v20
	v_fmac_f32_e32 v31, 0xbf167918, v16
	v_pk_add_f32 v[54:55], v[28:29], v[18:19] neg_lo:[0,1] neg_hi:[0,1]
	v_fmac_f32_e32 v31, 0x3e9e377a, v6
	v_lshlrev_b32_e32 v6, 4, v58
	v_add_f32_e32 v22, v32, v74
	v_mov_b32_e32 v28, v19
	v_mov_b32_e32 v29, v23
	v_mad_i32_i24 v32, v62, 20, v50
	v_sub_u32_e32 v53, v57, v6
	v_mov_b32_e32 v54, v19
	v_lshlrev_b32_e32 v6, 4, v60
	s_load_dwordx2 s[0:1], s[2:3], 0x0
	s_mov_b32 s3, 0x3e9e377a
	v_pk_add_f32 v[64:65], v[28:29], v[20:21] neg_lo:[0,1] neg_hi:[0,1]
	ds_write2_b32 v32, v24, v25 offset1:1
	ds_write2_b32 v32, v36, v37 offset0:2 offset1:3
	ds_write_b32 v32, v31 offset:16
	v_sub_u32_e32 v37, v63, v6
	v_pk_add_f32 v[18:19], v[54:55], v[38:39]
	v_mov_b32_e32 v66, v23
	v_mov_b32_e32 v67, 0x3e9e377a
	v_lshlrev_b32_e32 v6, 4, v62
	v_mov_b32_e32 v26, v21
	v_pk_add_f32 v[20:21], v[66:67], v[18:19]
	v_pk_mul_f32 v[18:19], v[18:19], s[2:3]
	v_sub_u32_e32 v51, v32, v6
	v_add_f32_e32 v6, v65, v64
	v_lshlrev_b32_e32 v16, 2, v58
	v_mov_b32_e32 v21, v19
	v_mul_f32_e32 v6, 0x3e9e377a, v6
	v_add_f32_e32 v22, v33, v22
	v_add_u32_e32 v33, v50, v16
	v_pk_add_f32 v[68:69], v[26:27], v[20:21]
	v_pk_add_f32 v[0:1], v[6:7], v[0:1] op_sel_hi:[0,1]
	s_waitcnt lgkmcnt(0)
	s_barrier
	v_lshl_add_u32 v36, v59, 2, v50
	v_add_u32_e32 v29, 0x800, v53
	v_add_u32_e32 v30, 0x1000, v53
	;; [unrolled: 1-line block ×3, first 2 shown]
	v_lshl_add_u32 v38, v61, 2, v50
	v_add_u32_e32 v39, 0xc00, v53
	v_add_u32_e32 v52, 0x1800, v53
	v_add_f32_e32 v66, v19, v22
	ds_read_b32 v28, v33
	ds_read_b32 v55, v36
	ds_read_b32 v27, v37
	ds_read_b32 v54, v38
	ds_read_b32 v26, v51
	ds_read2_b32 v[20:21], v29 offset0:113 offset1:238
	ds_read2_b32 v[72:73], v30 offset0:101 offset1:226
	;; [unrolled: 1-line block ×5, first 2 shown]
	s_waitcnt lgkmcnt(0)
	s_barrier
	ds_write2_b32 v57, v68, v69 offset1:1
	ds_write2_b32 v57, v0, v1 offset0:2 offset1:3
	ds_write_b32 v57, v66 offset:16
	v_mov_b32_e32 v1, v10
	v_pk_add_f32 v[0:1], v[0:1], v[8:9] neg_lo:[0,1] neg_hi:[0,1]
	v_mov_b32_e32 v8, v9
	v_mov_b32_e32 v0, v9
	v_pk_add_f32 v[0:1], v[0:1], v[40:41]
	v_mov_b32_e32 v9, v17
	v_pk_mul_f32 v[40:41], v[42:43], s[4:5]
	v_mov_b32_e32 v66, v17
	v_sub_f32_e32 v6, v75, v40
	v_add_f32_e32 v17, v40, v75
	v_pk_add_f32 v[8:9], v[8:9], v[10:11] neg_lo:[0,1] neg_hi:[0,1]
	v_add_f32_e32 v17, v41, v17
	v_sub_f32_e32 v41, v6, v41
	v_mov_b32_e32 v40, v11
	v_pk_add_f32 v[10:11], v[66:67], v[0:1]
	v_pk_mul_f32 v[0:1], v[0:1], s[2:3]
	v_add_f32_e32 v6, v9, v8
	v_pk_mul_f32 v[8:9], v[48:49], s[4:5]
	v_mov_b32_e32 v11, v1
	v_sub_f32_e32 v0, v76, v8
	v_add_f32_e32 v8, v8, v76
	v_pk_add_f32 v[10:11], v[40:41], v[10:11]
	v_add_f32_e32 v40, v9, v8
	v_sub_f32_e32 v9, v0, v9
	v_add_f32_e32 v8, v1, v17
	v_mov_b32_e32 v0, v3
	v_mov_b32_e32 v1, v7
	v_pk_add_f32 v[0:1], v[0:1], v[4:5] neg_lo:[0,1] neg_hi:[0,1]
	ds_write2_b32 v63, v10, v11 offset1:1
	v_add_f32_e32 v17, v1, v0
	v_mul_f32_e32 v0, 0x3e9e377a, v6
	v_mov_b32_e32 v1, v4
	v_pk_add_f32 v[10:11], v[0:1], v[2:3] neg_lo:[0,1] neg_hi:[0,1]
	v_pk_add_f32 v[0:1], v[0:1], v[34:35] op_sel_hi:[0,1]
	v_mov_b32_e32 v10, v3
	ds_write2_b32 v63, v0, v1 offset0:2 offset1:3
	ds_write_b32 v63, v8 offset:16
	v_pk_add_f32 v[0:1], v[10:11], v[46:47]
	v_mov_b32_e32 v66, v7
	v_pk_add_f32 v[6:7], v[66:67], v[0:1]
	v_pk_mul_f32 v[0:1], v[0:1], s[2:3]
	v_mul_f32_e32 v2, 0x3e9e377a, v17
	v_mov_b32_e32 v7, v1
	v_mov_b32_e32 v8, v5
	v_add_f32_e32 v3, v1, v40
	v_pk_add_f32 v[4:5], v[8:9], v[6:7]
	v_pk_add_f32 v[0:1], v[2:3], v[44:45] op_sel_hi:[0,1]
	s_movk_i32 s2, 0xcd
	ds_write2_b32 v32, v4, v5 offset1:1
	ds_write2_b32 v32, v0, v1 offset0:2 offset1:3
	ds_write_b32 v32, v3 offset:16
	v_mul_lo_u16_sdwa v0, v58, s2 dst_sel:DWORD dst_unused:UNUSED_PAD src0_sel:BYTE_0 src1_sel:DWORD
	v_lshrrev_b16_e32 v32, 10, v0
	v_mul_lo_u16_e32 v0, 5, v32
	v_sub_u16_e32 v34, v58, v0
	v_mov_b32_e32 v17, 5
	v_lshlrev_b32_sdwa v43, v17, v34 dst_sel:DWORD dst_unused:UNUSED_PAD src0_sel:DWORD src1_sel:BYTE_0
	s_waitcnt lgkmcnt(0)
	s_barrier
	global_load_dwordx4 v[44:47], v43, s[8:9] offset:16
	v_mul_lo_u16_sdwa v0, v60, s2 dst_sel:DWORD dst_unused:UNUSED_PAD src0_sel:BYTE_0 src1_sel:DWORD
	v_lshrrev_b16_e32 v35, 10, v0
	v_mul_lo_u16_e32 v0, 5, v35
	v_sub_u16_e32 v40, v60, v0
	v_lshlrev_b32_sdwa v48, v17, v40 dst_sel:DWORD dst_unused:UNUSED_PAD src0_sel:DWORD src1_sel:BYTE_0
	global_load_dwordx4 v[64:67], v48, s[8:9] offset:16
	s_mov_b32 s2, 0xcccd
	v_mul_u32_u24_sdwa v0, v62, s2 dst_sel:DWORD dst_unused:UNUSED_PAD src0_sel:WORD_0 src1_sel:DWORD
	v_lshrrev_b32_e32 v41, 18, v0
	v_mul_lo_u16_e32 v0, 5, v41
	v_sub_u16_e32 v42, v62, v0
	v_lshlrev_b32_e32 v49, 5, v42
	global_load_dwordx4 v[68:71], v49, s[8:9] offset:16
	global_load_dwordx4 v[0:3], v43, s[8:9]
	global_load_dwordx4 v[4:7], v49, s[8:9]
	;; [unrolled: 1-line block ×3, first 2 shown]
	ds_read2_b32 v[48:49], v30 offset0:101 offset1:226
	ds_read2_b32 v[74:75], v31 offset0:95 offset1:220
	s_movk_i32 s2, 0x64
	s_waitcnt vmcnt(5) lgkmcnt(1)
	v_mul_f32_e32 v43, v48, v45
	v_mul_f32_e32 v57, v72, v45
	v_fma_f32 v43, v72, v44, -v43
	v_fmac_f32_e32 v57, v48, v44
	s_waitcnt lgkmcnt(0)
	v_mul_f32_e32 v44, v75, v47
	v_fma_f32 v48, v25, v46, -v44
	ds_read2_b32 v[44:45], v52 offset0:89 offset1:214
	v_mul_f32_e32 v25, v25, v47
	s_waitcnt vmcnt(4)
	v_mul_f32_e32 v47, v73, v65
	v_fmac_f32_e32 v25, v75, v46
	v_mul_f32_e32 v46, v49, v65
	v_fmac_f32_e32 v47, v49, v64
	s_waitcnt lgkmcnt(0)
	v_mul_f32_e32 v49, v44, v67
	v_mul_f32_e32 v63, v22, v67
	v_fma_f32 v49, v22, v66, -v49
	v_fmac_f32_e32 v63, v44, v66
	ds_read_b32 v66, v36
	s_waitcnt vmcnt(3)
	v_mul_f32_e32 v22, v74, v69
	v_fma_f32 v44, v24, v68, -v22
	v_mul_f32_e32 v22, v45, v71
	v_mul_f32_e32 v65, v23, v71
	v_fma_f32 v46, v73, v64, -v46
	v_mul_f32_e32 v24, v24, v69
	v_fma_f32 v64, v23, v70, -v22
	v_fmac_f32_e32 v65, v45, v70
	s_waitcnt vmcnt(2) lgkmcnt(0)
	v_mul_f32_e32 v70, v66, v1
	v_fmac_f32_e32 v24, v74, v68
	ds_read2_b32 v[22:23], v29 offset0:113 offset1:238
	ds_read_b32 v45, v51
	ds_read_b32 v67, v38
	;; [unrolled: 1-line block ×4, first 2 shown]
	v_fma_f32 v70, v55, v0, -v70
	v_mul_f32_e32 v55, v55, v1
	v_fmac_f32_e32 v55, v66, v0
	s_waitcnt lgkmcnt(4)
	v_mul_f32_e32 v0, v23, v3
	v_fma_f32 v66, v21, v2, -v0
	ds_read2_b32 v[0:1], v39 offset0:107 offset1:232
	v_mul_f32_e32 v3, v21, v3
	v_fmac_f32_e32 v3, v23, v2
	s_waitcnt vmcnt(1)
	v_mul_f32_e32 v2, v22, v5
	v_mul_f32_e32 v5, v20, v5
	v_fma_f32 v2, v20, v4, -v2
	v_fmac_f32_e32 v5, v22, v4
	s_waitcnt lgkmcnt(0)
	v_mul_f32_e32 v4, v1, v7
	v_mul_f32_e32 v7, v19, v7
	v_fma_f32 v4, v19, v6, -v4
	v_fmac_f32_e32 v7, v1, v6
	s_waitcnt vmcnt(0)
	v_mul_f32_e32 v6, v18, v11
	v_mul_f32_e32 v1, v0, v11
	v_fmac_f32_e32 v6, v0, v10
	v_mul_f32_e32 v0, v67, v9
	v_mul_f32_e32 v9, v54, v9
	v_fma_f32 v0, v54, v8, -v0
	v_fmac_f32_e32 v9, v67, v8
	v_add_f32_e32 v8, v66, v43
	v_fma_f32 v1, v18, v10, -v1
	v_fma_f32 v8, -0.5, v8, v28
	v_sub_f32_e32 v10, v55, v25
	v_sub_f32_e32 v11, v70, v66
	;; [unrolled: 1-line block ×3, first 2 shown]
	v_add_f32_e32 v11, v11, v18
	v_fmamk_f32 v18, v10, 0x3f737871, v8
	v_sub_f32_e32 v19, v3, v57
	v_fmac_f32_e32 v8, 0xbf737871, v10
	v_fmac_f32_e32 v18, 0x3f167918, v19
	;; [unrolled: 1-line block ×3, first 2 shown]
	v_add_f32_e32 v20, v70, v48
	v_fmac_f32_e32 v18, 0x3e9e377a, v11
	v_fmac_f32_e32 v8, 0x3e9e377a, v11
	v_add_f32_e32 v11, v28, v70
	v_fmac_f32_e32 v28, -0.5, v20
	v_sub_f32_e32 v20, v66, v70
	v_sub_f32_e32 v21, v43, v48
	v_add_f32_e32 v20, v20, v21
	v_fmamk_f32 v21, v19, 0xbf737871, v28
	v_fmac_f32_e32 v28, 0x3f737871, v19
	v_fmac_f32_e32 v21, 0x3f167918, v10
	;; [unrolled: 1-line block ×5, first 2 shown]
	v_add_f32_e32 v10, v11, v66
	v_sub_f32_e32 v20, v55, v3
	v_sub_f32_e32 v22, v25, v57
	v_add_f32_e32 v10, v10, v43
	v_add_f32_e32 v20, v20, v22
	;; [unrolled: 1-line block ×4, first 2 shown]
	v_sub_f32_e32 v11, v70, v48
	v_fma_f32 v48, -0.5, v22, v69
	v_sub_f32_e32 v19, v66, v43
	v_fmamk_f32 v54, v11, 0xbf737871, v48
	v_fmac_f32_e32 v48, 0x3f737871, v11
	v_fmac_f32_e32 v54, 0xbf167918, v19
	;; [unrolled: 1-line block ×5, first 2 shown]
	v_add_f32_e32 v20, v69, v55
	v_add_f32_e32 v22, v55, v25
	;; [unrolled: 1-line block ×3, first 2 shown]
	v_fmac_f32_e32 v69, -0.5, v22
	v_add_f32_e32 v20, v20, v57
	v_sub_f32_e32 v3, v3, v55
	v_add_f32_e32 v55, v20, v25
	v_sub_f32_e32 v20, v57, v25
	v_fmamk_f32 v57, v19, 0x3f737871, v69
	v_fmac_f32_e32 v69, 0xbf737871, v19
	v_add_f32_e32 v3, v3, v20
	v_fmac_f32_e32 v57, 0xbf167918, v11
	v_fmac_f32_e32 v69, 0x3f167918, v11
	v_fmac_f32_e32 v57, 0x3e9e377a, v3
	v_fmac_f32_e32 v69, 0x3e9e377a, v3
	v_add_f32_e32 v3, v1, v46
	v_sub_f32_e32 v11, v0, v1
	v_sub_f32_e32 v19, v49, v46
	v_fma_f32 v3, -0.5, v3, v27
	v_add_f32_e32 v11, v11, v19
	v_sub_f32_e32 v19, v9, v63
	v_fmamk_f32 v20, v19, 0x3f737871, v3
	v_sub_f32_e32 v22, v6, v47
	v_fmac_f32_e32 v3, 0xbf737871, v19
	v_fmac_f32_e32 v20, 0x3f167918, v22
	;; [unrolled: 1-line block ×3, first 2 shown]
	v_add_f32_e32 v23, v0, v49
	v_fmac_f32_e32 v20, 0x3e9e377a, v11
	v_fmac_f32_e32 v3, 0x3e9e377a, v11
	v_add_f32_e32 v11, v27, v0
	v_fmac_f32_e32 v27, -0.5, v23
	v_sub_f32_e32 v23, v1, v0
	v_sub_f32_e32 v25, v46, v49
	v_add_f32_e32 v23, v23, v25
	v_fmamk_f32 v25, v22, 0xbf737871, v27
	v_fmac_f32_e32 v27, 0x3f737871, v22
	v_fmac_f32_e32 v25, 0x3f167918, v19
	;; [unrolled: 1-line block ×3, first 2 shown]
	v_sub_f32_e32 v19, v9, v6
	v_sub_f32_e32 v22, v63, v47
	v_add_f32_e32 v11, v11, v1
	v_add_f32_e32 v19, v19, v22
	;; [unrolled: 1-line block ×4, first 2 shown]
	v_sub_f32_e32 v0, v0, v49
	v_sub_f32_e32 v1, v1, v46
	v_fma_f32 v46, -0.5, v22, v68
	v_add_f32_e32 v11, v11, v49
	v_fmamk_f32 v49, v0, 0xbf737871, v46
	v_fmac_f32_e32 v46, 0x3f737871, v0
	v_fmac_f32_e32 v49, 0xbf167918, v1
	;; [unrolled: 1-line block ×5, first 2 shown]
	v_add_f32_e32 v19, v68, v9
	v_add_f32_e32 v22, v9, v63
	v_fmac_f32_e32 v68, -0.5, v22
	v_add_f32_e32 v19, v19, v6
	v_sub_f32_e32 v6, v6, v9
	v_add_f32_e32 v9, v19, v47
	v_sub_f32_e32 v19, v47, v63
	v_fmamk_f32 v47, v1, 0x3f737871, v68
	v_fmac_f32_e32 v68, 0xbf737871, v1
	v_add_f32_e32 v6, v6, v19
	v_fmac_f32_e32 v47, 0xbf167918, v0
	v_fmac_f32_e32 v68, 0x3f167918, v0
	;; [unrolled: 1-line block ×4, first 2 shown]
	v_add_f32_e32 v0, v4, v44
	v_sub_f32_e32 v1, v2, v4
	v_sub_f32_e32 v6, v64, v44
	v_fma_f32 v0, -0.5, v0, v26
	v_add_f32_e32 v1, v1, v6
	v_sub_f32_e32 v6, v5, v65
	v_fmamk_f32 v19, v6, 0x3f737871, v0
	v_sub_f32_e32 v22, v7, v24
	v_fmac_f32_e32 v0, 0xbf737871, v6
	v_fmac_f32_e32 v25, 0x3e9e377a, v23
	v_fmac_f32_e32 v27, 0x3e9e377a, v23
	v_fmac_f32_e32 v19, 0x3f167918, v22
	v_fmac_f32_e32 v0, 0xbf167918, v22
	v_add_f32_e32 v23, v2, v64
	v_fmac_f32_e32 v19, 0x3e9e377a, v1
	v_fmac_f32_e32 v0, 0x3e9e377a, v1
	v_add_f32_e32 v1, v26, v2
	v_fmac_f32_e32 v26, -0.5, v23
	v_add_f32_e32 v9, v9, v63
	v_fmamk_f32 v63, v22, 0xbf737871, v26
	v_fmac_f32_e32 v26, 0x3f737871, v22
	v_fmac_f32_e32 v63, 0x3f167918, v6
	;; [unrolled: 1-line block ×3, first 2 shown]
	v_sub_f32_e32 v6, v5, v7
	v_sub_f32_e32 v22, v65, v24
	v_add_f32_e32 v1, v1, v4
	v_add_f32_e32 v6, v6, v22
	v_add_f32_e32 v22, v7, v24
	v_sub_f32_e32 v23, v4, v2
	v_sub_f32_e32 v43, v44, v64
	v_add_f32_e32 v1, v1, v44
	v_sub_f32_e32 v2, v2, v64
	v_sub_f32_e32 v4, v4, v44
	v_fma_f32 v44, -0.5, v22, v45
	v_add_f32_e32 v1, v1, v64
	v_fmamk_f32 v64, v2, 0xbf737871, v44
	v_fmac_f32_e32 v44, 0x3f737871, v2
	v_fmac_f32_e32 v64, 0xbf167918, v4
	;; [unrolled: 1-line block ×5, first 2 shown]
	v_add_f32_e32 v6, v45, v5
	v_add_f32_e32 v22, v5, v65
	v_fmac_f32_e32 v45, -0.5, v22
	v_add_f32_e32 v6, v6, v7
	v_sub_f32_e32 v5, v7, v5
	v_sub_f32_e32 v7, v24, v65
	v_add_f32_e32 v23, v23, v43
	v_add_f32_e32 v5, v5, v7
	v_fmamk_f32 v7, v4, 0x3f737871, v45
	v_fmac_f32_e32 v45, 0xbf737871, v4
	v_mov_b32_e32 v43, 2
	v_lshlrev_b32_sdwa v4, v43, v34 dst_sel:DWORD dst_unused:UNUSED_PAD src0_sel:DWORD src1_sel:BYTE_0
	v_fmac_f32_e32 v7, 0xbf167918, v2
	v_fmac_f32_e32 v45, 0x3f167918, v2
	v_mad_u32_u24 v2, v32, s2, 0
	v_lshlrev_b32_sdwa v22, v43, v40 dst_sel:DWORD dst_unused:UNUSED_PAD src0_sel:DWORD src1_sel:BYTE_0
	v_add3_u32 v2, v2, v4, v56
	v_mad_u32_u24 v4, v35, s2, 0
	v_add3_u32 v4, v4, v22, v56
	v_fmac_f32_e32 v63, 0x3e9e377a, v23
	v_fmac_f32_e32 v26, 0x3e9e377a, v23
	v_lshlrev_b32_e32 v23, 2, v42
	s_barrier
	ds_write2_b32 v2, v10, v18 offset1:5
	ds_write2_b32 v2, v21, v28 offset0:10 offset1:15
	ds_write_b32 v2, v8 offset:80
	ds_write2_b32 v4, v11, v20 offset1:5
	ds_write2_b32 v4, v25, v27 offset0:10 offset1:15
	ds_write_b32 v4, v3 offset:80
	v_mad_u32_u24 v3, v41, s2, 0
	v_add3_u32 v3, v3, v23, v56
	ds_write2_b32 v3, v1, v19 offset1:5
	ds_write2_b32 v3, v63, v26 offset0:10 offset1:15
	ds_write_b32 v3, v0 offset:80
	v_mov_b32_e32 v0, 41
	v_mul_lo_u16_sdwa v1, v58, v0 dst_sel:DWORD dst_unused:UNUSED_PAD src0_sel:BYTE_0 src1_sel:DWORD
	v_lshrrev_b16_e32 v27, 10, v1
	v_add_f32_e32 v6, v6, v24
	v_mul_lo_u16_e32 v1, 25, v27
	v_add_f32_e32 v6, v6, v65
	v_fmac_f32_e32 v7, 0x3e9e377a, v5
	v_fmac_f32_e32 v45, 0x3e9e377a, v5
	s_waitcnt lgkmcnt(0)
	s_barrier
	ds_read2_b32 v[20:21], v29 offset0:113 offset1:238
	ds_read2_b32 v[22:23], v30 offset0:101 offset1:226
	;; [unrolled: 1-line block ×5, first 2 shown]
	ds_read_b32 v26, v33
	ds_read_b32 v42, v36
	;; [unrolled: 1-line block ×5, first 2 shown]
	s_waitcnt lgkmcnt(0)
	s_barrier
	ds_write2_b32 v2, v55, v54 offset1:5
	ds_write2_b32 v2, v57, v69 offset0:10 offset1:15
	ds_write_b32 v2, v48 offset:80
	ds_write2_b32 v4, v9, v49 offset1:5
	ds_write2_b32 v4, v47, v68 offset0:10 offset1:15
	ds_write_b32 v4, v46 offset:80
	;; [unrolled: 3-line block ×3, first 2 shown]
	v_sub_u16_e32 v57, v58, v1
	v_lshlrev_b32_sdwa v48, v17, v57 dst_sel:DWORD dst_unused:UNUSED_PAD src0_sel:DWORD src1_sel:BYTE_0
	v_mul_lo_u16_sdwa v0, v60, v0 dst_sel:DWORD dst_unused:UNUSED_PAD src0_sel:BYTE_0 src1_sel:DWORD
	s_waitcnt lgkmcnt(0)
	s_barrier
	global_load_dwordx4 v[44:47], v48, s[8:9] offset:176
	v_lshrrev_b16_e32 v28, 10, v0
	v_mul_lo_u16_e32 v0, 25, v28
	s_movk_i32 s2, 0x47af
	v_sub_u16_e32 v72, v60, v0
	v_mul_u32_u24_sdwa v0, v62, s2 dst_sel:DWORD dst_unused:UNUSED_PAD src0_sel:WORD_0 src1_sel:DWORD
	v_sub_u16_sdwa v1, v62, v0 dst_sel:DWORD dst_unused:UNUSED_PAD src0_sel:DWORD src1_sel:WORD_1
	v_lshlrev_b32_sdwa v49, v17, v72 dst_sel:DWORD dst_unused:UNUSED_PAD src0_sel:DWORD src1_sel:BYTE_0
	global_load_dwordx4 v[64:67], v49, s[8:9] offset:176
	v_lshrrev_b16_e32 v1, 1, v1
	v_add_u16_sdwa v0, v1, v0 dst_sel:DWORD dst_unused:UNUSED_PAD src0_sel:DWORD src1_sel:WORD_1
	v_lshrrev_b16_e32 v17, 4, v0
	v_mul_lo_u16_e32 v0, 25, v17
	v_sub_u16_e32 v32, v62, v0
	v_lshlrev_b32_e32 v54, 5, v32
	global_load_dwordx4 v[68:71], v54, s[8:9] offset:176
	global_load_dwordx4 v[0:3], v48, s[8:9] offset:160
	;; [unrolled: 1-line block ×4, first 2 shown]
	ds_read2_b32 v[48:49], v30 offset0:101 offset1:226
	ds_read2_b32 v[54:55], v31 offset0:95 offset1:220
	s_movk_i32 s2, 0x1f4
	s_waitcnt vmcnt(5) lgkmcnt(1)
	v_mul_f32_e32 v73, v48, v45
	v_mul_f32_e32 v74, v22, v45
	v_fma_f32 v73, v22, v44, -v73
	v_fmac_f32_e32 v74, v48, v44
	ds_read2_b32 v[44:45], v52 offset0:89 offset1:214
	s_waitcnt lgkmcnt(1)
	v_mul_f32_e32 v22, v55, v47
	v_fma_f32 v48, v35, v46, -v22
	v_mul_f32_e32 v35, v35, v47
	v_fmac_f32_e32 v35, v55, v46
	ds_read_b32 v55, v36
	s_waitcnt vmcnt(4)
	v_mul_f32_e32 v22, v49, v65
	v_fma_f32 v46, v23, v64, -v22
	v_mul_f32_e32 v47, v23, v65
	s_waitcnt lgkmcnt(1)
	v_mul_f32_e32 v22, v44, v67
	v_fmac_f32_e32 v47, v49, v64
	v_fma_f32 v49, v40, v66, -v22
	v_mul_f32_e32 v40, v40, v67
	s_waitcnt vmcnt(3)
	v_mul_f32_e32 v22, v54, v69
	v_fmac_f32_e32 v40, v44, v66
	v_fma_f32 v44, v34, v68, -v22
	v_mul_f32_e32 v34, v34, v69
	v_mul_f32_e32 v22, v45, v71
	v_fmac_f32_e32 v34, v54, v68
	v_fma_f32 v54, v41, v70, -v22
	v_mul_f32_e32 v41, v41, v71
	s_waitcnt vmcnt(2) lgkmcnt(0)
	v_mul_f32_e32 v67, v55, v1
	v_fmac_f32_e32 v41, v45, v70
	ds_read2_b32 v[22:23], v29 offset0:113 offset1:238
	ds_read_b32 v45, v51
	ds_read_b32 v64, v38
	;; [unrolled: 1-line block ×4, first 2 shown]
	v_fma_f32 v67, v42, v0, -v67
	v_mul_f32_e32 v42, v42, v1
	v_fmac_f32_e32 v42, v55, v0
	s_waitcnt lgkmcnt(4)
	v_mul_f32_e32 v0, v23, v3
	v_fma_f32 v55, v21, v2, -v0
	ds_read2_b32 v[0:1], v39 offset0:107 offset1:232
	v_mul_f32_e32 v3, v21, v3
	v_fmac_f32_e32 v3, v23, v2
	s_waitcnt vmcnt(1)
	v_mul_f32_e32 v2, v22, v5
	v_mul_f32_e32 v5, v20, v5
	v_fma_f32 v2, v20, v4, -v2
	v_fmac_f32_e32 v5, v22, v4
	s_waitcnt lgkmcnt(0)
	v_mul_f32_e32 v4, v1, v7
	v_mul_f32_e32 v7, v19, v7
	v_fma_f32 v4, v19, v6, -v4
	v_fmac_f32_e32 v7, v1, v6
	s_waitcnt vmcnt(0)
	v_mul_f32_e32 v1, v0, v11
	v_mul_f32_e32 v6, v18, v11
	;; [unrolled: 1-line block ×4, first 2 shown]
	v_fma_f32 v11, v63, v8, -v11
	v_fmac_f32_e32 v9, v64, v8
	v_add_f32_e32 v8, v55, v73
	v_fma_f32 v1, v18, v10, -v1
	v_fma_f32 v8, -0.5, v8, v26
	v_sub_f32_e32 v18, v42, v35
	v_sub_f32_e32 v20, v67, v55
	;; [unrolled: 1-line block ×3, first 2 shown]
	v_fmamk_f32 v19, v18, 0x3f737871, v8
	v_add_f32_e32 v20, v20, v21
	v_sub_f32_e32 v21, v3, v74
	v_fmac_f32_e32 v8, 0xbf737871, v18
	v_fmac_f32_e32 v19, 0x3f167918, v21
	v_fmac_f32_e32 v8, 0xbf167918, v21
	v_add_f32_e32 v22, v67, v48
	v_fmac_f32_e32 v19, 0x3e9e377a, v20
	v_fmac_f32_e32 v8, 0x3e9e377a, v20
	v_add_f32_e32 v20, v26, v67
	v_fmac_f32_e32 v26, -0.5, v22
	v_sub_f32_e32 v22, v55, v67
	v_sub_f32_e32 v23, v73, v48
	v_add_f32_e32 v22, v22, v23
	v_fmamk_f32 v23, v21, 0xbf737871, v26
	v_fmac_f32_e32 v26, 0x3f737871, v21
	v_fmac_f32_e32 v23, 0x3f167918, v18
	;; [unrolled: 1-line block ×4, first 2 shown]
	v_lshlrev_b32_sdwa v0, v43, v57 dst_sel:DWORD dst_unused:UNUSED_PAD src0_sel:DWORD src1_sel:BYTE_0
	v_lshlrev_b32_sdwa v10, v43, v72 dst_sel:DWORD dst_unused:UNUSED_PAD src0_sel:DWORD src1_sel:BYTE_0
	v_fmac_f32_e32 v23, 0x3e9e377a, v22
	v_fmac_f32_e32 v26, 0x3e9e377a, v22
	v_sub_f32_e32 v22, v42, v3
	v_sub_f32_e32 v43, v35, v74
	v_add_f32_e32 v18, v20, v55
	v_add_f32_e32 v22, v22, v43
	;; [unrolled: 1-line block ×4, first 2 shown]
	v_sub_f32_e32 v20, v67, v48
	v_fma_f32 v43, -0.5, v43, v66
	v_add_f32_e32 v18, v18, v48
	v_sub_f32_e32 v21, v55, v73
	v_fmamk_f32 v48, v20, 0xbf737871, v43
	v_fmac_f32_e32 v43, 0x3f737871, v20
	v_fmac_f32_e32 v48, 0xbf167918, v21
	v_fmac_f32_e32 v43, 0x3f167918, v21
	v_fmac_f32_e32 v48, 0x3e9e377a, v22
	v_fmac_f32_e32 v43, 0x3e9e377a, v22
	v_add_f32_e32 v22, v66, v42
	v_add_f32_e32 v55, v42, v35
	;; [unrolled: 1-line block ×3, first 2 shown]
	v_fmac_f32_e32 v66, -0.5, v55
	v_add_f32_e32 v22, v22, v74
	v_sub_f32_e32 v3, v3, v42
	v_add_f32_e32 v42, v22, v35
	v_sub_f32_e32 v22, v74, v35
	v_fmamk_f32 v55, v21, 0x3f737871, v66
	v_fmac_f32_e32 v66, 0xbf737871, v21
	v_fmac_f32_e32 v55, 0xbf167918, v20
	v_add_f32_e32 v3, v3, v22
	v_fmac_f32_e32 v66, 0x3f167918, v20
	v_fmac_f32_e32 v55, 0x3e9e377a, v3
	;; [unrolled: 1-line block ×3, first 2 shown]
	v_add_f32_e32 v3, v1, v46
	v_fma_f32 v3, -0.5, v3, v25
	v_sub_f32_e32 v20, v9, v40
	v_sub_f32_e32 v21, v11, v1
	;; [unrolled: 1-line block ×3, first 2 shown]
	v_add_f32_e32 v21, v21, v22
	v_fmamk_f32 v22, v20, 0x3f737871, v3
	v_sub_f32_e32 v35, v6, v47
	v_fmac_f32_e32 v3, 0xbf737871, v20
	v_fmac_f32_e32 v22, 0x3f167918, v35
	;; [unrolled: 1-line block ×3, first 2 shown]
	v_add_f32_e32 v57, v11, v49
	v_fmac_f32_e32 v22, 0x3e9e377a, v21
	v_fmac_f32_e32 v3, 0x3e9e377a, v21
	v_add_f32_e32 v21, v25, v11
	v_fmac_f32_e32 v25, -0.5, v57
	v_sub_f32_e32 v57, v1, v11
	v_sub_f32_e32 v63, v46, v49
	v_add_f32_e32 v57, v57, v63
	v_fmamk_f32 v63, v35, 0xbf737871, v25
	v_fmac_f32_e32 v25, 0x3f737871, v35
	v_fmac_f32_e32 v63, 0x3f167918, v20
	v_fmac_f32_e32 v25, 0xbf167918, v20
	v_add_f32_e32 v20, v21, v1
	v_sub_f32_e32 v21, v9, v6
	v_sub_f32_e32 v35, v40, v47
	v_add_f32_e32 v21, v21, v35
	v_add_f32_e32 v35, v6, v47
	;; [unrolled: 1-line block ×3, first 2 shown]
	v_sub_f32_e32 v11, v11, v49
	v_sub_f32_e32 v1, v1, v46
	v_fma_f32 v46, -0.5, v35, v65
	v_add_f32_e32 v20, v20, v49
	v_fmamk_f32 v49, v11, 0xbf737871, v46
	v_fmac_f32_e32 v46, 0x3f737871, v11
	v_fmac_f32_e32 v49, 0xbf167918, v1
	;; [unrolled: 1-line block ×5, first 2 shown]
	v_add_f32_e32 v21, v65, v9
	v_add_f32_e32 v35, v9, v40
	v_fmac_f32_e32 v65, -0.5, v35
	v_add_f32_e32 v21, v21, v6
	v_sub_f32_e32 v6, v6, v9
	v_add_f32_e32 v9, v21, v47
	v_sub_f32_e32 v21, v47, v40
	v_fmamk_f32 v47, v1, 0x3f737871, v65
	v_fmac_f32_e32 v65, 0xbf737871, v1
	v_fmac_f32_e32 v47, 0xbf167918, v11
	v_add_f32_e32 v6, v6, v21
	v_fmac_f32_e32 v65, 0x3f167918, v11
	v_add_f32_e32 v1, v4, v44
	v_fmac_f32_e32 v47, 0x3e9e377a, v6
	v_fmac_f32_e32 v65, 0x3e9e377a, v6
	v_fma_f32 v1, -0.5, v1, v24
	v_sub_f32_e32 v6, v5, v41
	v_sub_f32_e32 v11, v2, v4
	;; [unrolled: 1-line block ×3, first 2 shown]
	v_add_f32_e32 v11, v11, v21
	v_fmamk_f32 v21, v6, 0x3f737871, v1
	v_sub_f32_e32 v35, v7, v34
	v_fmac_f32_e32 v1, 0xbf737871, v6
	v_add_f32_e32 v9, v9, v40
	v_fmac_f32_e32 v21, 0x3f167918, v35
	v_fmac_f32_e32 v1, 0xbf167918, v35
	v_add_f32_e32 v40, v2, v54
	v_fmac_f32_e32 v63, 0x3e9e377a, v57
	v_fmac_f32_e32 v25, 0x3e9e377a, v57
	;; [unrolled: 1-line block ×4, first 2 shown]
	v_add_f32_e32 v11, v24, v2
	v_fmac_f32_e32 v24, -0.5, v40
	v_sub_f32_e32 v40, v4, v2
	v_sub_f32_e32 v57, v44, v54
	v_add_f32_e32 v40, v40, v57
	v_fmamk_f32 v57, v35, 0xbf737871, v24
	v_fmac_f32_e32 v24, 0x3f737871, v35
	v_fmac_f32_e32 v57, 0x3f167918, v6
	;; [unrolled: 1-line block ×3, first 2 shown]
	v_add_f32_e32 v6, v11, v4
	v_sub_f32_e32 v11, v5, v7
	v_sub_f32_e32 v35, v41, v34
	v_add_f32_e32 v11, v11, v35
	v_add_f32_e32 v35, v7, v34
	v_add_f32_e32 v6, v6, v44
	v_sub_f32_e32 v2, v2, v54
	v_sub_f32_e32 v4, v4, v44
	v_fma_f32 v44, -0.5, v35, v45
	v_add_f32_e32 v6, v6, v54
	v_fmamk_f32 v54, v2, 0xbf737871, v44
	v_fmac_f32_e32 v44, 0x3f737871, v2
	v_fmac_f32_e32 v54, 0xbf167918, v4
	;; [unrolled: 1-line block ×3, first 2 shown]
	v_add_f32_e32 v35, v5, v41
	v_fmac_f32_e32 v54, 0x3e9e377a, v11
	v_fmac_f32_e32 v44, 0x3e9e377a, v11
	v_add_f32_e32 v11, v45, v5
	v_fmac_f32_e32 v45, -0.5, v35
	v_fmamk_f32 v64, v4, 0x3f737871, v45
	v_fmac_f32_e32 v45, 0xbf737871, v4
	v_fmac_f32_e32 v64, 0xbf167918, v2
	;; [unrolled: 1-line block ×3, first 2 shown]
	v_mad_u32_u24 v2, v27, s2, 0
	v_add3_u32 v0, v2, v0, v56
	v_mad_u32_u24 v2, v28, s2, 0
	v_add3_u32 v2, v2, v10, v56
	v_add_f32_e32 v11, v11, v7
	v_sub_f32_e32 v5, v7, v5
	v_lshlrev_b32_e32 v7, 2, v32
	v_sub_f32_e32 v32, v34, v41
	s_barrier
	ds_write2_b32 v0, v18, v19 offset1:25
	ds_write2_b32 v0, v23, v26 offset0:50 offset1:75
	ds_write_b32 v0, v8 offset:400
	ds_write2_b32 v2, v20, v22 offset1:25
	ds_write2_b32 v2, v63, v25 offset0:50 offset1:75
	ds_write_b32 v2, v3 offset:400
	v_mad_u32_u24 v3, v17, s2, 0
	v_fmac_f32_e32 v57, 0x3e9e377a, v40
	v_fmac_f32_e32 v24, 0x3e9e377a, v40
	v_add_f32_e32 v11, v11, v34
	v_add_f32_e32 v5, v5, v32
	v_add3_u32 v3, v3, v7, v56
	s_movk_i32 s2, 0x625
	v_add_f32_e32 v11, v11, v41
	v_fmac_f32_e32 v64, 0x3e9e377a, v5
	v_fmac_f32_e32 v45, 0x3e9e377a, v5
	ds_write2_b32 v3, v6, v21 offset1:25
	ds_write2_b32 v3, v57, v24 offset0:50 offset1:75
	ds_write_b32 v3, v1 offset:400
	s_waitcnt lgkmcnt(0)
	s_barrier
	ds_read2_b32 v[22:23], v29 offset0:113 offset1:238
	ds_read2_b32 v[24:25], v30 offset0:101 offset1:226
	;; [unrolled: 1-line block ×5, first 2 shown]
	ds_read_b32 v28, v33
	ds_read_b32 v32, v36
	;; [unrolled: 1-line block ×5, first 2 shown]
	s_waitcnt lgkmcnt(0)
	s_barrier
	ds_write2_b32 v0, v42, v48 offset1:25
	ds_write2_b32 v0, v55, v66 offset0:50 offset1:75
	ds_write_b32 v0, v43 offset:400
	ds_write2_b32 v2, v9, v49 offset1:25
	ds_write2_b32 v2, v47, v65 offset0:50 offset1:75
	ds_write_b32 v2, v46 offset:400
	;; [unrolled: 3-line block ×3, first 2 shown]
	v_mul_u32_u24_sdwa v0, v62, s2 dst_sel:DWORD dst_unused:UNUSED_PAD src0_sel:WORD_0 src1_sel:DWORD
	v_sub_u16_sdwa v1, v62, v0 dst_sel:DWORD dst_unused:UNUSED_PAD src0_sel:DWORD src1_sel:WORD_1
	v_lshrrev_b16_e32 v1, 1, v1
	v_add_u16_sdwa v0, v1, v0 dst_sel:DWORD dst_unused:UNUSED_PAD src0_sel:DWORD src1_sel:WORD_1
	v_lshrrev_b16_e32 v0, 6, v0
	v_mul_lo_u16_e32 v0, 0x7d, v0
	v_sub_u16_e32 v48, v62, v0
	v_lshlrev_b32_e32 v44, 5, v48
	s_waitcnt lgkmcnt(0)
	s_barrier
	global_load_dwordx4 v[0:3], v44, s[8:9] offset:960
	v_mov_b32_e32 v17, 0
	v_lshl_add_u64 v[42:43], v[16:17], 3, s[8:9]
	global_load_dwordx4 v[4:7], v[42:43], off offset:960
	global_load_dwordx4 v[8:11], v[42:43], off offset:976
	global_load_dwordx4 v[18:21], v44, s[8:9] offset:976
	ds_read2_b32 v[42:43], v29 offset0:113 offset1:238
	ds_read2_b32 v[44:45], v30 offset0:101 offset1:226
	;; [unrolled: 1-line block ×3, first 2 shown]
	s_movk_i32 s2, 0x1000
	s_waitcnt vmcnt(3) lgkmcnt(2)
	v_mul_f32_e32 v16, v42, v1
	v_fma_f32 v16, v22, v0, -v16
	v_mul_f32_e32 v22, v22, v1
	v_fmac_f32_e32 v22, v42, v0
	s_waitcnt lgkmcnt(0)
	v_mul_f32_e32 v0, v47, v3
	v_fma_f32 v42, v35, v2, -v0
	v_mul_f32_e32 v35, v35, v3
	v_fmac_f32_e32 v35, v47, v2
	s_waitcnt vmcnt(2)
	v_mul_f32_e32 v2, v43, v7
	v_fma_f32 v47, v23, v6, -v2
	v_mul_f32_e32 v23, v23, v7
	v_fmac_f32_e32 v23, v43, v6
	v_mul_f32_e32 v43, v46, v7
	v_mul_f32_e32 v7, v34, v7
	ds_read2_b32 v[0:1], v31 offset0:95 offset1:220
	ds_read2_b32 v[2:3], v52 offset0:89 offset1:214
	v_fma_f32 v43, v34, v6, -v43
	v_fmac_f32_e32 v7, v46, v6
	ds_read_b32 v6, v36
	ds_read_b32 v34, v37
	;; [unrolled: 1-line block ×5, first 2 shown]
	s_waitcnt lgkmcnt(4)
	v_mul_f32_e32 v55, v6, v5
	v_fma_f32 v55, v32, v4, -v55
	v_mul_f32_e32 v32, v32, v5
	v_fmac_f32_e32 v32, v6, v4
	s_waitcnt lgkmcnt(2)
	v_mul_f32_e32 v6, v46, v5
	v_mul_f32_e32 v5, v57, v5
	v_fma_f32 v6, v57, v4, -v6
	v_fmac_f32_e32 v5, v46, v4
	s_waitcnt vmcnt(1)
	v_mul_f32_e32 v4, v44, v9
	v_mul_f32_e32 v46, v45, v9
	v_fma_f32 v4, v24, v8, -v4
	v_mul_f32_e32 v24, v24, v9
	v_fma_f32 v46, v25, v8, -v46
	v_mul_f32_e32 v9, v25, v9
	v_mul_f32_e32 v25, v27, v11
	v_fmac_f32_e32 v24, v44, v8
	v_mul_f32_e32 v44, v1, v11
	v_fmac_f32_e32 v25, v1, v10
	v_fmac_f32_e32 v9, v45, v8
	v_mul_f32_e32 v1, v2, v11
	v_mul_f32_e32 v8, v40, v11
	v_fma_f32 v44, v27, v10, -v44
	v_fma_f32 v1, v40, v10, -v1
	v_fmac_f32_e32 v8, v2, v10
	s_waitcnt vmcnt(0)
	v_mul_f32_e32 v2, v0, v19
	v_mul_f32_e32 v10, v26, v19
	v_fma_f32 v2, v26, v18, -v2
	v_fmac_f32_e32 v10, v0, v18
	v_add_f32_e32 v18, v47, v4
	v_mul_f32_e32 v0, v3, v21
	v_mul_f32_e32 v11, v41, v21
	v_fma_f32 v18, -0.5, v18, v28
	v_sub_f32_e32 v19, v32, v25
	v_fma_f32 v0, v41, v20, -v0
	v_fmac_f32_e32 v11, v3, v20
	v_fmamk_f32 v20, v19, 0x3f737871, v18
	v_sub_f32_e32 v21, v23, v24
	v_sub_f32_e32 v26, v55, v47
	;; [unrolled: 1-line block ×3, first 2 shown]
	v_fmac_f32_e32 v18, 0xbf737871, v19
	v_fmac_f32_e32 v20, 0x3f167918, v21
	v_add_f32_e32 v26, v26, v27
	v_fmac_f32_e32 v18, 0xbf167918, v21
	v_fmac_f32_e32 v20, 0x3e9e377a, v26
	v_fmac_f32_e32 v18, 0x3e9e377a, v26
	v_add_f32_e32 v26, v55, v44
	v_add_f32_e32 v3, v28, v55
	v_fmac_f32_e32 v28, -0.5, v26
	v_fmamk_f32 v26, v21, 0xbf737871, v28
	v_sub_f32_e32 v27, v47, v55
	v_sub_f32_e32 v40, v4, v44
	v_fmac_f32_e32 v28, 0x3f737871, v21
	v_add_f32_e32 v3, v3, v47
	v_fmac_f32_e32 v26, 0x3f167918, v19
	v_add_f32_e32 v27, v27, v40
	;; [unrolled: 2-line block ×3, first 2 shown]
	v_add_f32_e32 v3, v3, v4
	v_fmac_f32_e32 v26, 0x3e9e377a, v27
	v_fmac_f32_e32 v28, 0x3e9e377a, v27
	s_waitcnt lgkmcnt(0)
	v_fma_f32 v21, -0.5, v21, v54
	v_sub_f32_e32 v27, v55, v44
	v_add_f32_e32 v3, v3, v44
	v_fmamk_f32 v40, v27, 0xbf737871, v21
	v_sub_f32_e32 v4, v47, v4
	v_sub_f32_e32 v41, v32, v23
	;; [unrolled: 1-line block ×3, first 2 shown]
	v_fmac_f32_e32 v21, 0x3f737871, v27
	v_fmac_f32_e32 v40, 0xbf167918, v4
	v_add_f32_e32 v41, v41, v44
	v_fmac_f32_e32 v21, 0x3f167918, v4
	v_add_f32_e32 v19, v54, v32
	v_fmac_f32_e32 v40, 0x3e9e377a, v41
	v_fmac_f32_e32 v21, 0x3e9e377a, v41
	v_add_f32_e32 v41, v32, v25
	v_add_f32_e32 v19, v19, v23
	v_fmac_f32_e32 v54, -0.5, v41
	v_add_f32_e32 v19, v19, v24
	v_fmamk_f32 v41, v4, 0x3f737871, v54
	v_sub_f32_e32 v23, v23, v32
	v_sub_f32_e32 v24, v24, v25
	v_fmac_f32_e32 v54, 0xbf737871, v4
	v_fmac_f32_e32 v41, 0xbf167918, v27
	v_add_f32_e32 v23, v23, v24
	v_fmac_f32_e32 v54, 0x3f167918, v27
	v_fmac_f32_e32 v41, 0x3e9e377a, v23
	;; [unrolled: 1-line block ×3, first 2 shown]
	v_add_f32_e32 v23, v43, v46
	v_fma_f32 v23, -0.5, v23, v56
	v_sub_f32_e32 v24, v5, v8
	v_add_f32_e32 v19, v19, v25
	v_fmamk_f32 v25, v24, 0x3f737871, v23
	v_sub_f32_e32 v27, v7, v9
	v_sub_f32_e32 v32, v6, v43
	;; [unrolled: 1-line block ×3, first 2 shown]
	v_fmac_f32_e32 v23, 0xbf737871, v24
	v_fmac_f32_e32 v25, 0x3f167918, v27
	v_add_f32_e32 v32, v32, v44
	v_fmac_f32_e32 v23, 0xbf167918, v27
	v_fmac_f32_e32 v25, 0x3e9e377a, v32
	;; [unrolled: 1-line block ×3, first 2 shown]
	v_add_f32_e32 v32, v6, v1
	v_add_f32_e32 v4, v56, v6
	v_fmac_f32_e32 v56, -0.5, v32
	v_add_f32_e32 v4, v4, v43
	v_fmamk_f32 v32, v27, 0xbf737871, v56
	v_sub_f32_e32 v44, v43, v6
	v_sub_f32_e32 v45, v46, v1
	v_fmac_f32_e32 v56, 0x3f737871, v27
	v_add_f32_e32 v4, v4, v46
	v_fmac_f32_e32 v32, 0x3f167918, v24
	v_add_f32_e32 v44, v44, v45
	;; [unrolled: 2-line block ×3, first 2 shown]
	v_add_f32_e32 v4, v4, v1
	v_fmac_f32_e32 v32, 0x3e9e377a, v44
	v_fmac_f32_e32 v56, 0x3e9e377a, v44
	v_fma_f32 v44, -0.5, v27, v34
	v_sub_f32_e32 v1, v6, v1
	v_fmamk_f32 v45, v1, 0xbf737871, v44
	v_sub_f32_e32 v6, v43, v46
	v_sub_f32_e32 v27, v5, v7
	;; [unrolled: 1-line block ×3, first 2 shown]
	v_fmac_f32_e32 v44, 0x3f737871, v1
	v_fmac_f32_e32 v45, 0xbf167918, v6
	v_add_f32_e32 v27, v27, v43
	v_fmac_f32_e32 v44, 0x3f167918, v6
	v_fmac_f32_e32 v45, 0x3e9e377a, v27
	;; [unrolled: 1-line block ×3, first 2 shown]
	v_add_f32_e32 v27, v5, v8
	v_add_f32_e32 v24, v34, v5
	v_fmac_f32_e32 v34, -0.5, v27
	v_add_f32_e32 v24, v24, v7
	v_fmamk_f32 v43, v6, 0x3f737871, v34
	v_sub_f32_e32 v5, v7, v5
	v_sub_f32_e32 v7, v9, v8
	v_fmac_f32_e32 v34, 0xbf737871, v6
	v_fmac_f32_e32 v43, 0xbf167918, v1
	v_add_f32_e32 v5, v5, v7
	v_fmac_f32_e32 v34, 0x3f167918, v1
	v_fmac_f32_e32 v43, 0x3e9e377a, v5
	;; [unrolled: 1-line block ×3, first 2 shown]
	v_add_f32_e32 v5, v42, v2
	v_add_f32_e32 v24, v24, v9
	v_fma_f32 v5, -0.5, v5, v63
	v_sub_f32_e32 v6, v22, v11
	v_add_f32_e32 v24, v24, v8
	v_fmamk_f32 v7, v6, 0x3f737871, v5
	v_sub_f32_e32 v8, v35, v10
	v_sub_f32_e32 v9, v16, v42
	;; [unrolled: 1-line block ×3, first 2 shown]
	v_fmac_f32_e32 v5, 0xbf737871, v6
	v_fmac_f32_e32 v7, 0x3f167918, v8
	v_add_f32_e32 v9, v9, v27
	v_fmac_f32_e32 v5, 0xbf167918, v8
	v_fmac_f32_e32 v7, 0x3e9e377a, v9
	;; [unrolled: 1-line block ×3, first 2 shown]
	v_add_f32_e32 v9, v16, v0
	v_add_f32_e32 v1, v63, v16
	v_fmac_f32_e32 v63, -0.5, v9
	v_fmamk_f32 v9, v8, 0xbf737871, v63
	v_fmac_f32_e32 v63, 0x3f737871, v8
	v_fmac_f32_e32 v9, 0x3f167918, v6
	;; [unrolled: 1-line block ×3, first 2 shown]
	v_add_f32_e32 v6, v49, v22
	v_add_f32_e32 v6, v6, v35
	;; [unrolled: 1-line block ×3, first 2 shown]
	v_sub_f32_e32 v27, v42, v16
	v_sub_f32_e32 v46, v2, v0
	v_add_f32_e32 v6, v6, v10
	v_add_f32_e32 v1, v1, v2
	;; [unrolled: 1-line block ×6, first 2 shown]
	v_fma_f32 v47, -0.5, v6, v49
	v_sub_f32_e32 v0, v16, v0
	v_fmamk_f32 v16, v0, 0xbf737871, v47
	v_sub_f32_e32 v2, v42, v2
	v_sub_f32_e32 v6, v22, v35
	;; [unrolled: 1-line block ×3, first 2 shown]
	v_fmac_f32_e32 v47, 0x3f737871, v0
	v_fmac_f32_e32 v16, 0xbf167918, v2
	v_add_f32_e32 v6, v6, v8
	v_fmac_f32_e32 v47, 0x3f167918, v2
	v_fmac_f32_e32 v16, 0x3e9e377a, v6
	;; [unrolled: 1-line block ×3, first 2 shown]
	v_add_f32_e32 v6, v22, v11
	v_sub_f32_e32 v8, v10, v11
	v_add_u32_e32 v11, 0x600, v53
	v_fmac_f32_e32 v49, -0.5, v6
	v_sub_f32_e32 v6, v35, v22
	s_barrier
	ds_write2_b32 v11, v18, v4 offset0:116 offset1:241
	v_add_u32_e32 v18, 0xa00, v53
	v_lshl_add_u32 v35, v48, 2, v50
	v_fmamk_f32 v42, v2, 0x3f737871, v49
	v_fmac_f32_e32 v49, 0xbf737871, v2
	v_add_u32_e32 v10, 0x200, v53
	ds_write2_b32 v18, v25, v32 offset0:110 offset1:235
	v_add_u32_e32 v25, 0xe00, v53
	v_add_u32_e32 v48, 0x1200, v35
	v_fmac_f32_e32 v9, 0x3e9e377a, v27
	v_fmac_f32_e32 v63, 0x3e9e377a, v27
	;; [unrolled: 1-line block ×3, first 2 shown]
	v_add_f32_e32 v6, v6, v8
	v_fmac_f32_e32 v49, 0x3f167918, v0
	ds_write2_b32 v53, v3, v20 offset1:125
	ds_write2_b32 v10, v26, v28 offset0:122 offset1:247
	ds_write2_b32 v25, v56, v23 offset0:104 offset1:229
	ds_write2_b32 v48, v1, v7 offset0:98 offset1:223
	v_add_u32_e32 v1, 0x1600, v35
	v_fmac_f32_e32 v42, 0x3e9e377a, v6
	v_fmac_f32_e32 v49, 0x3e9e377a, v6
	ds_write2_b32 v1, v9, v63 offset0:92 offset1:217
	ds_write_b32 v35, v5 offset:7000
	s_waitcnt lgkmcnt(0)
	s_barrier
	ds_read_b32 v32, v33
	ds_read2_b32 v[26:27], v29 offset0:113 offset1:238
	ds_read2_b32 v[2:3], v30 offset0:101 offset1:226
	;; [unrolled: 1-line block ×4, first 2 shown]
	ds_read_b32 v20, v51
	ds_read_b32 v0, v38
	;; [unrolled: 1-line block ×4, first 2 shown]
	ds_read2_b32 v[4:5], v52 offset0:89 offset1:214
	s_waitcnt lgkmcnt(0)
	s_barrier
	ds_write2_b32 v53, v19, v40 offset1:125
	ds_write2_b32 v10, v41, v54 offset0:122 offset1:247
	ds_write2_b32 v11, v21, v24 offset0:116 offset1:241
	;; [unrolled: 1-line block ×6, first 2 shown]
	ds_write_b32 v35, v47 offset:7000
	s_waitcnt lgkmcnt(0)
	s_barrier
	s_and_saveexec_b64 s[4:5], vcc
	s_cbranch_execz .LBB0_15
; %bb.14:
	v_lshlrev_b32_e32 v16, 1, v61
	v_lshl_add_u64 v[18:19], v[16:17], 3, s[8:9]
	v_lshlrev_b32_e32 v16, 1, v59
	v_lshl_add_u64 v[24:25], v[16:17], 3, s[8:9]
	;; [unrolled: 2-line block ×5, first 2 shown]
	v_add_co_u32_e32 v10, vcc, s2, v10
	v_mul_lo_u32 v53, s1, v14
	s_nop 0
	v_addc_co_u32_e32 v11, vcc, 0, v11, vcc
	global_load_dwordx4 v[40:43], v[10:11], off offset:864
	v_mul_lo_u32 v54, s0, v15
	v_mad_u64_u32 v[46:47], s[0:1], s0, v14, 0
	s_mov_b32 s1, 0xd1b71759
	ds_read2_b32 v[14:15], v30 offset0:101 offset1:226
	ds_read2_b32 v[10:11], v52 offset0:89 offset1:214
	;; [unrolled: 1-line block ×4, first 2 shown]
	ds_read_b32 v21, v51
	ds_read2_b32 v[48:49], v29 offset0:113 offset1:238
	ds_read_b32 v1, v38
	ds_read_b32 v29, v37
	;; [unrolled: 1-line block ×4, first 2 shown]
	v_add3_u32 v47, v47, v54, v53
	v_mul_hi_u32 v36, v58, s1
	v_add_co_u32_e32 v34, vcc, s2, v34
	v_lshrrev_b32_e32 v51, 9, v36
	v_lshl_add_u64 v[36:37], v[46:47], 3, s[6:7]
	v_addc_co_u32_e32 v35, vcc, 0, v35, vcc
	v_lshl_add_u64 v[12:13], v[12:13], 3, v[36:37]
	global_load_dwordx4 v[34:37], v[34:35], off offset:864
	v_mov_b32_e32 v38, v3
	v_mov_b32_e32 v50, v3
	v_add_u32_e32 v3, 0x7d, v58
	v_mul_hi_u32 v39, v3, s1
	v_lshrrev_b32_e32 v59, 9, v39
	v_mul_u32_u24_e32 v39, 0x271, v51
	v_sub_u32_e32 v39, v58, v39
	v_mad_u64_u32 v[46:47], s[4:5], s16, v39, 0
	v_add_u32_e32 v51, 0x271, v39
	v_add_u32_e32 v53, 0x4e2, v39
	v_mov_b32_e32 v54, v47
	v_mad_u64_u32 v[56:57], s[4:5], s16, v51, 0
	v_mad_u64_u32 v[60:61], s[4:5], s16, v53, 0
	v_mul_u32_u24_e32 v65, 0x271, v59
	v_mad_u64_u32 v[54:55], s[4:5], s17, v39, v[54:55]
	v_mov_b32_e32 v62, v57
	v_mov_b32_e32 v64, v61
	;; [unrolled: 1-line block ×3, first 2 shown]
	v_mad_u64_u32 v[54:55], s[4:5], s17, v51, v[62:63]
	v_mad_u64_u32 v[62:63], s[4:5], s17, v53, v[64:65]
	s_waitcnt lgkmcnt(9)
	v_mov_b32_e32 v52, v15
	v_mov_b32_e32 v57, v54
	;; [unrolled: 1-line block ×3, first 2 shown]
	v_lshl_add_u64 v[54:55], v[56:57], 3, v[12:13]
	v_lshl_add_u64 v[56:57], v[60:61], 3, v[12:13]
	s_mov_b32 s0, 0x3f5db3d7
	v_lshl_add_u64 v[46:47], v[46:47], 3, v[12:13]
	v_sub_u32_e32 v3, v3, v65
	s_movk_i32 s3, 0x753
	v_mad_u32_u24 v3, v59, s3, v3
	v_add_u32_e32 v15, 0x271, v3
	s_waitcnt vmcnt(1) lgkmcnt(4)
	v_pk_mul_f32 v[60:61], v[40:41], v[48:49] op_sel_hi:[1,0]
	v_pk_mul_f32 v[52:53], v[42:43], v[52:53] op_sel_hi:[1,0]
	v_pk_fma_f32 v[62:63], v[26:27], v[40:41], v[60:61] op_sel:[0,0,1] op_sel_hi:[1,1,0] neg_lo:[0,0,1] neg_hi:[0,0,1]
	v_pk_fma_f32 v[40:41], v[26:27], v[40:41], v[60:61] op_sel:[0,0,1] op_sel_hi:[0,1,0]
	v_pk_fma_f32 v[38:39], v[38:39], v[42:43], v[52:53] op_sel:[0,0,1] op_sel_hi:[1,1,0] neg_lo:[0,0,1] neg_hi:[0,0,1]
	v_pk_fma_f32 v[42:43], v[50:51], v[42:43], v[52:53] op_sel:[0,0,1] op_sel_hi:[0,1,0]
	v_mov_b32_e32 v63, v41
	v_mov_b32_e32 v39, v43
	v_pk_add_f32 v[40:41], v[62:63], v[38:39]
	v_pk_add_f32 v[42:43], v[62:63], v[38:39] neg_lo:[0,1] neg_hi:[0,1]
	s_waitcnt lgkmcnt(0)
	v_pk_add_f32 v[50:51], v[32:33], v[62:63]
	v_pk_fma_f32 v[32:33], v[40:41], 0.5, v[32:33] op_sel_hi:[1,0,1] neg_lo:[1,0,0] neg_hi:[1,0,0]
	v_pk_mul_f32 v[40:41], v[42:43], s[0:1] op_sel_hi:[1,0]
	v_pk_add_f32 v[38:39], v[50:51], v[38:39]
	v_pk_add_f32 v[42:43], v[32:33], v[40:41] op_sel:[0,1] op_sel_hi:[1,0] neg_lo:[0,1] neg_hi:[0,1]
	v_pk_add_f32 v[32:33], v[32:33], v[40:41] op_sel:[0,1] op_sel_hi:[1,0]
	global_store_dwordx2 v[46:47], v[38:39], off
	v_mov_b32_e32 v38, v32
	v_mov_b32_e32 v39, v43
	;; [unrolled: 1-line block ×3, first 2 shown]
	global_store_dwordx2 v[54:55], v[38:39], off
	global_store_dwordx2 v[56:57], v[42:43], off
	v_add_co_u32_e32 v38, vcc, s2, v44
	v_mad_u64_u32 v[32:33], s[4:5], s16, v3, 0
	s_nop 0
	v_addc_co_u32_e32 v39, vcc, 0, v45, vcc
	global_load_dwordx4 v[38:41], v[38:39], off offset:864
	v_mov_b32_e32 v26, v33
	v_mad_u64_u32 v[42:43], s[4:5], s17, v3, v[26:27]
	v_mov_b32_e32 v33, v42
	v_mad_u64_u32 v[42:43], s[4:5], s16, v15, 0
	;; [unrolled: 2-line block ×3, first 2 shown]
	v_add_u32_e32 v3, 0x4e2, v3
	v_mov_b32_e32 v43, v44
	v_mad_u64_u32 v[44:45], s[4:5], s16, v3, 0
	v_mov_b32_e32 v26, v45
	v_mad_u64_u32 v[46:47], s[4:5], s17, v3, v[26:27]
	v_mov_b32_e32 v26, v49
	v_mov_b32_e32 v45, v46
	s_waitcnt vmcnt(4)
	v_pk_mul_f32 v[46:47], v[34:35], v[26:27] op_sel_hi:[1,0]
	v_mov_b32_e32 v26, v27
	v_mov_b32_e32 v48, v27
	v_pk_fma_f32 v[26:27], v[26:27], v[34:35], v[46:47] op_sel:[0,0,1] op_sel_hi:[1,1,0] neg_lo:[0,0,1] neg_hi:[0,0,1]
	v_pk_fma_f32 v[34:35], v[48:49], v[34:35], v[46:47] op_sel:[0,0,1] op_sel_hi:[0,1,0]
	v_mov_b32_e32 v27, v35
	v_pk_mul_f32 v[34:35], v[36:37], v[30:31] op_sel_hi:[1,0]
	v_add_u32_e32 v3, 0xfa, v58
	v_pk_fma_f32 v[46:47], v[22:23], v[36:37], v[34:35] op_sel:[0,0,1] op_sel_hi:[1,1,0] neg_lo:[0,0,1] neg_hi:[0,0,1]
	v_pk_fma_f32 v[34:35], v[22:23], v[36:37], v[34:35] op_sel:[0,0,1] op_sel_hi:[0,1,0]
	v_mov_b32_e32 v47, v35
	v_pk_add_f32 v[34:35], v[26:27], v[46:47]
	v_pk_add_f32 v[36:37], v[26:27], v[46:47] neg_lo:[0,1] neg_hi:[0,1]
	v_pk_fma_f32 v[34:35], v[34:35], 0.5, v[28:29] op_sel_hi:[1,0,1] neg_lo:[1,0,0] neg_hi:[1,0,0]
	v_pk_mul_f32 v[36:37], v[36:37], s[0:1] op_sel_hi:[1,0]
	v_pk_add_f32 v[26:27], v[28:29], v[26:27]
	v_lshl_add_u64 v[32:33], v[32:33], 3, v[12:13]
	v_pk_add_f32 v[48:49], v[34:35], v[36:37] op_sel:[0,1] op_sel_hi:[1,0] neg_lo:[0,1] neg_hi:[0,1]
	v_pk_add_f32 v[34:35], v[34:35], v[36:37] op_sel:[0,1] op_sel_hi:[1,0]
	v_pk_add_f32 v[26:27], v[26:27], v[46:47]
	v_mul_hi_u32 v15, v3, s1
	v_add_co_u32_e32 v24, vcc, s2, v24
	v_lshl_add_u64 v[42:43], v[42:43], 3, v[12:13]
	global_store_dwordx2 v[32:33], v[26:27], off
	v_mov_b32_e32 v26, v34
	v_mov_b32_e32 v27, v49
	v_lshrrev_b32_e32 v15, 9, v15
	v_addc_co_u32_e32 v25, vcc, 0, v25, vcc
	global_store_dwordx2 v[42:43], v[26:27], off
	v_mul_u32_u24_e32 v22, 0x271, v15
	global_load_dwordx4 v[24:27], v[24:25], off offset:864
	v_sub_u32_e32 v3, v3, v22
	v_mad_u32_u24 v3, v15, s3, v3
	v_mad_u64_u32 v[28:29], s[4:5], s16, v3, 0
	v_mov_b32_e32 v22, v29
	v_mad_u64_u32 v[32:33], s[4:5], s17, v3, v[22:23]
	v_add_u32_e32 v15, 0x271, v3
	v_mov_b32_e32 v29, v32
	v_mad_u64_u32 v[32:33], s[4:5], s16, v15, 0
	v_mov_b32_e32 v22, v33
	v_mov_b32_e32 v49, v35
	v_mad_u64_u32 v[34:35], s[4:5], s17, v15, v[22:23]
	v_add_u32_e32 v3, 0x4e2, v3
	v_mov_b32_e32 v33, v34
	v_mad_u64_u32 v[34:35], s[4:5], s16, v3, 0
	v_mov_b32_e32 v22, v35
	v_mad_u64_u32 v[36:37], s[4:5], s17, v3, v[22:23]
	v_mov_b32_e32 v35, v36
	v_lshl_add_u64 v[44:45], v[44:45], 3, v[12:13]
	v_lshl_add_u64 v[28:29], v[28:29], 3, v[12:13]
	v_add_co_u32_e32 v18, vcc, s2, v18
	global_store_dwordx2 v[44:45], v[48:49], off
	s_waitcnt vmcnt(4)
	v_pk_mul_f32 v[36:37], v[38:39], v[16:17] op_sel_hi:[1,0]
	v_mov_b32_e32 v16, v23
	v_pk_fma_f32 v[42:43], v[8:9], v[38:39], v[36:37] op_sel:[0,0,1] op_sel_hi:[1,1,0] neg_lo:[0,0,1] neg_hi:[0,0,1]
	v_pk_fma_f32 v[36:37], v[8:9], v[38:39], v[36:37] op_sel:[0,0,1] op_sel_hi:[0,1,0]
	v_mov_b32_e32 v8, v31
	v_pk_mul_f32 v[30:31], v[40:41], v[8:9] op_sel_hi:[1,0]
	v_mov_b32_e32 v8, v23
	v_pk_fma_f32 v[22:23], v[8:9], v[40:41], v[30:31] op_sel:[0,0,1] op_sel_hi:[1,1,0] neg_lo:[0,0,1] neg_hi:[0,0,1]
	v_pk_fma_f32 v[30:31], v[16:17], v[40:41], v[30:31] op_sel:[0,0,1] op_sel_hi:[0,1,0]
	v_mov_b32_e32 v43, v37
	v_mov_b32_e32 v23, v31
	v_pk_add_f32 v[30:31], v[42:43], v[22:23]
	v_pk_add_f32 v[36:37], v[42:43], v[22:23] neg_lo:[0,1] neg_hi:[0,1]
	v_pk_fma_f32 v[30:31], v[30:31], 0.5, v[20:21] op_sel_hi:[1,0,1] neg_lo:[1,0,0] neg_hi:[1,0,0]
	v_pk_mul_f32 v[36:37], v[36:37], s[0:1] op_sel_hi:[1,0]
	v_pk_add_f32 v[20:21], v[20:21], v[42:43]
	v_pk_add_f32 v[38:39], v[30:31], v[36:37] op_sel:[0,1] op_sel_hi:[1,0] neg_lo:[0,1] neg_hi:[0,1]
	v_pk_add_f32 v[30:31], v[30:31], v[36:37] op_sel:[0,1] op_sel_hi:[1,0]
	v_pk_add_f32 v[20:21], v[20:21], v[22:23]
	v_lshl_add_u64 v[32:33], v[32:33], 3, v[12:13]
	global_store_dwordx2 v[28:29], v[20:21], off
	v_mov_b32_e32 v20, v30
	v_mov_b32_e32 v21, v39
	v_addc_co_u32_e32 v19, vcc, 0, v19, vcc
	global_store_dwordx2 v[32:33], v[20:21], off
	global_load_dwordx4 v[18:21], v[18:19], off offset:864
	v_add_u32_e32 v3, 0x177, v58
	v_mul_hi_u32 v8, v3, s1
	v_lshrrev_b32_e32 v8, 9, v8
	v_mul_u32_u24_e32 v15, 0x271, v8
	v_sub_u32_e32 v3, v3, v15
	v_mad_u32_u24 v3, v8, s3, v3
	v_mad_u64_u32 v[22:23], s[4:5], s16, v3, 0
	v_mov_b32_e32 v8, v23
	v_mad_u64_u32 v[28:29], s[4:5], s17, v3, v[8:9]
	v_add_u32_e32 v15, 0x271, v3
	v_mov_b32_e32 v23, v28
	v_mad_u64_u32 v[28:29], s[4:5], s16, v15, 0
	v_mov_b32_e32 v8, v29
	v_mov_b32_e32 v39, v31
	v_mad_u64_u32 v[30:31], s[4:5], s17, v15, v[8:9]
	v_add_u32_e32 v3, 0x4e2, v3
	v_mov_b32_e32 v29, v30
	v_mad_u64_u32 v[30:31], s[4:5], s16, v3, 0
	v_mov_b32_e32 v8, v31
	v_mad_u64_u32 v[32:33], s[4:5], s17, v3, v[8:9]
	v_mov_b32_e32 v8, v17
	v_mov_b32_e32 v31, v32
	s_waitcnt vmcnt(4)
	v_pk_mul_f32 v[16:17], v[24:25], v[8:9] op_sel_hi:[1,0]
	v_mov_b32_e32 v8, v9
	v_mov_b32_e32 v32, v9
	v_pk_fma_f32 v[8:9], v[8:9], v[24:25], v[16:17] op_sel:[0,0,1] op_sel_hi:[1,1,0] neg_lo:[0,0,1] neg_hi:[0,0,1]
	v_pk_fma_f32 v[16:17], v[32:33], v[24:25], v[16:17] op_sel:[0,0,1] op_sel_hi:[0,1,0]
	v_mov_b32_e32 v9, v17
	v_pk_mul_f32 v[16:17], v[26:27], v[10:11] op_sel_hi:[1,0]
	v_add_u32_e32 v3, 0x1f4, v58
	v_pk_fma_f32 v[24:25], v[4:5], v[26:27], v[16:17] op_sel:[0,0,1] op_sel_hi:[1,1,0] neg_lo:[0,0,1] neg_hi:[0,0,1]
	v_pk_fma_f32 v[16:17], v[4:5], v[26:27], v[16:17] op_sel:[0,0,1] op_sel_hi:[0,1,0]
	v_mov_b32_e32 v25, v17
	v_pk_add_f32 v[16:17], v[8:9], v[24:25]
	v_pk_add_f32 v[26:27], v[8:9], v[24:25] neg_lo:[0,1] neg_hi:[0,1]
	v_pk_fma_f32 v[16:17], v[16:17], 0.5, v[6:7] op_sel_hi:[1,0,1] neg_lo:[1,0,0] neg_hi:[1,0,0]
	v_pk_mul_f32 v[26:27], v[26:27], s[0:1] op_sel_hi:[1,0]
	v_pk_add_f32 v[6:7], v[6:7], v[8:9]
	v_lshl_add_u64 v[34:35], v[34:35], 3, v[12:13]
	v_lshl_add_u64 v[22:23], v[22:23], 3, v[12:13]
	v_pk_add_f32 v[32:33], v[16:17], v[26:27] op_sel:[0,1] op_sel_hi:[1,0] neg_lo:[0,1] neg_hi:[0,1]
	v_pk_add_f32 v[16:17], v[16:17], v[26:27] op_sel:[0,1] op_sel_hi:[1,0]
	v_pk_add_f32 v[6:7], v[6:7], v[24:25]
	v_mul_hi_u32 v4, v3, s1
	global_store_dwordx2 v[34:35], v[38:39], off
	v_lshl_add_u64 v[28:29], v[28:29], 3, v[12:13]
	global_store_dwordx2 v[22:23], v[6:7], off
	v_mov_b32_e32 v6, v16
	v_mov_b32_e32 v7, v33
	v_lshrrev_b32_e32 v4, 9, v4
	global_store_dwordx2 v[28:29], v[6:7], off
	v_mul_u32_u24_e32 v6, 0x271, v4
	v_sub_u32_e32 v3, v3, v6
	v_mad_u32_u24 v3, v4, s3, v3
	v_mad_u64_u32 v[6:7], s[2:3], s16, v3, 0
	v_mov_b32_e32 v4, v7
	v_mad_u64_u32 v[8:9], s[2:3], s17, v3, v[4:5]
	v_add_u32_e32 v10, 0x271, v3
	v_mov_b32_e32 v7, v8
	v_mad_u64_u32 v[8:9], s[2:3], s16, v10, 0
	v_mov_b32_e32 v4, v9
	v_mov_b32_e32 v33, v17
	v_mad_u64_u32 v[16:17], s[2:3], s17, v10, v[4:5]
	v_add_u32_e32 v3, 0x4e2, v3
	v_mov_b32_e32 v9, v16
	v_mad_u64_u32 v[16:17], s[2:3], s16, v3, 0
	v_mov_b32_e32 v4, v17
	v_mad_u64_u32 v[22:23], s[2:3], s17, v3, v[4:5]
	v_mov_b32_e32 v17, v22
	s_waitcnt vmcnt(3)
	v_pk_mul_f32 v[14:15], v[18:19], v[14:15] op_sel_hi:[1,0]
	v_lshl_add_u64 v[30:31], v[30:31], 3, v[12:13]
	v_lshl_add_u64 v[6:7], v[6:7], 3, v[12:13]
	;; [unrolled: 1-line block ×4, first 2 shown]
	v_pk_fma_f32 v[16:17], v[2:3], v[18:19], v[14:15] op_sel:[0,0,1] op_sel_hi:[1,1,0] neg_lo:[0,0,1] neg_hi:[0,0,1]
	v_pk_fma_f32 v[2:3], v[2:3], v[18:19], v[14:15] op_sel:[0,0,1] op_sel_hi:[0,1,0]
	v_mov_b32_e32 v2, v11
	v_mov_b32_e32 v17, v3
	v_pk_mul_f32 v[2:3], v[20:21], v[2:3] op_sel_hi:[1,0]
	v_mov_b32_e32 v4, v5
	v_mov_b32_e32 v10, v5
	v_pk_fma_f32 v[4:5], v[4:5], v[20:21], v[2:3] op_sel:[0,0,1] op_sel_hi:[1,1,0] neg_lo:[0,0,1] neg_hi:[0,0,1]
	v_pk_fma_f32 v[2:3], v[10:11], v[20:21], v[2:3] op_sel:[0,0,1] op_sel_hi:[0,1,0]
	v_mov_b32_e32 v5, v3
	v_pk_add_f32 v[2:3], v[16:17], v[4:5]
	v_pk_add_f32 v[10:11], v[16:17], v[4:5] neg_lo:[0,1] neg_hi:[0,1]
	v_pk_fma_f32 v[2:3], v[2:3], 0.5, v[0:1] op_sel_hi:[1,0,1] neg_lo:[1,0,0] neg_hi:[1,0,0]
	v_pk_mul_f32 v[10:11], v[10:11], s[0:1] op_sel_hi:[1,0]
	v_pk_add_f32 v[0:1], v[0:1], v[16:17]
	v_pk_add_f32 v[14:15], v[2:3], v[10:11] op_sel:[0,1] op_sel_hi:[1,0] neg_lo:[0,1] neg_hi:[0,1]
	v_pk_add_f32 v[2:3], v[2:3], v[10:11] op_sel:[0,1] op_sel_hi:[1,0]
	v_pk_add_f32 v[0:1], v[0:1], v[4:5]
	global_store_dwordx2 v[30:31], v[32:33], off
	global_store_dwordx2 v[6:7], v[0:1], off
	v_mov_b32_e32 v0, v2
	v_mov_b32_e32 v1, v15
	;; [unrolled: 1-line block ×3, first 2 shown]
	global_store_dwordx2 v[8:9], v[0:1], off
	global_store_dwordx2 v[12:13], v[14:15], off
.LBB0_15:
	s_endpgm
	.section	.rodata,"a",@progbits
	.p2align	6, 0x0
	.amdhsa_kernel fft_rtc_fwd_len1875_factors_5_5_5_5_3_wgs_250_tpt_125_halfLds_sp_op_CI_CI_sbrr_dirReg
		.amdhsa_group_segment_fixed_size 0
		.amdhsa_private_segment_fixed_size 0
		.amdhsa_kernarg_size 104
		.amdhsa_user_sgpr_count 2
		.amdhsa_user_sgpr_dispatch_ptr 0
		.amdhsa_user_sgpr_queue_ptr 0
		.amdhsa_user_sgpr_kernarg_segment_ptr 1
		.amdhsa_user_sgpr_dispatch_id 0
		.amdhsa_user_sgpr_kernarg_preload_length 0
		.amdhsa_user_sgpr_kernarg_preload_offset 0
		.amdhsa_user_sgpr_private_segment_size 0
		.amdhsa_uses_dynamic_stack 0
		.amdhsa_enable_private_segment 0
		.amdhsa_system_sgpr_workgroup_id_x 1
		.amdhsa_system_sgpr_workgroup_id_y 0
		.amdhsa_system_sgpr_workgroup_id_z 0
		.amdhsa_system_sgpr_workgroup_info 0
		.amdhsa_system_vgpr_workitem_id 0
		.amdhsa_next_free_vgpr 77
		.amdhsa_next_free_sgpr 32
		.amdhsa_accum_offset 80
		.amdhsa_reserve_vcc 1
		.amdhsa_float_round_mode_32 0
		.amdhsa_float_round_mode_16_64 0
		.amdhsa_float_denorm_mode_32 3
		.amdhsa_float_denorm_mode_16_64 3
		.amdhsa_dx10_clamp 1
		.amdhsa_ieee_mode 1
		.amdhsa_fp16_overflow 0
		.amdhsa_tg_split 0
		.amdhsa_exception_fp_ieee_invalid_op 0
		.amdhsa_exception_fp_denorm_src 0
		.amdhsa_exception_fp_ieee_div_zero 0
		.amdhsa_exception_fp_ieee_overflow 0
		.amdhsa_exception_fp_ieee_underflow 0
		.amdhsa_exception_fp_ieee_inexact 0
		.amdhsa_exception_int_div_zero 0
	.end_amdhsa_kernel
	.text
.Lfunc_end0:
	.size	fft_rtc_fwd_len1875_factors_5_5_5_5_3_wgs_250_tpt_125_halfLds_sp_op_CI_CI_sbrr_dirReg, .Lfunc_end0-fft_rtc_fwd_len1875_factors_5_5_5_5_3_wgs_250_tpt_125_halfLds_sp_op_CI_CI_sbrr_dirReg
                                        ; -- End function
	.section	.AMDGPU.csdata,"",@progbits
; Kernel info:
; codeLenInByte = 11332
; NumSgprs: 38
; NumVgprs: 77
; NumAgprs: 0
; TotalNumVgprs: 77
; ScratchSize: 0
; MemoryBound: 0
; FloatMode: 240
; IeeeMode: 1
; LDSByteSize: 0 bytes/workgroup (compile time only)
; SGPRBlocks: 4
; VGPRBlocks: 9
; NumSGPRsForWavesPerEU: 38
; NumVGPRsForWavesPerEU: 77
; AccumOffset: 80
; Occupancy: 6
; WaveLimiterHint : 1
; COMPUTE_PGM_RSRC2:SCRATCH_EN: 0
; COMPUTE_PGM_RSRC2:USER_SGPR: 2
; COMPUTE_PGM_RSRC2:TRAP_HANDLER: 0
; COMPUTE_PGM_RSRC2:TGID_X_EN: 1
; COMPUTE_PGM_RSRC2:TGID_Y_EN: 0
; COMPUTE_PGM_RSRC2:TGID_Z_EN: 0
; COMPUTE_PGM_RSRC2:TIDIG_COMP_CNT: 0
; COMPUTE_PGM_RSRC3_GFX90A:ACCUM_OFFSET: 19
; COMPUTE_PGM_RSRC3_GFX90A:TG_SPLIT: 0
	.text
	.p2alignl 6, 3212836864
	.fill 256, 4, 3212836864
	.type	__hip_cuid_2f576c7a1b9f3ad2,@object ; @__hip_cuid_2f576c7a1b9f3ad2
	.section	.bss,"aw",@nobits
	.globl	__hip_cuid_2f576c7a1b9f3ad2
__hip_cuid_2f576c7a1b9f3ad2:
	.byte	0                               ; 0x0
	.size	__hip_cuid_2f576c7a1b9f3ad2, 1

	.ident	"AMD clang version 19.0.0git (https://github.com/RadeonOpenCompute/llvm-project roc-6.4.0 25133 c7fe45cf4b819c5991fe208aaa96edf142730f1d)"
	.section	".note.GNU-stack","",@progbits
	.addrsig
	.addrsig_sym __hip_cuid_2f576c7a1b9f3ad2
	.amdgpu_metadata
---
amdhsa.kernels:
  - .agpr_count:     0
    .args:
      - .actual_access:  read_only
        .address_space:  global
        .offset:         0
        .size:           8
        .value_kind:     global_buffer
      - .offset:         8
        .size:           8
        .value_kind:     by_value
      - .actual_access:  read_only
        .address_space:  global
        .offset:         16
        .size:           8
        .value_kind:     global_buffer
      - .actual_access:  read_only
        .address_space:  global
        .offset:         24
        .size:           8
        .value_kind:     global_buffer
      - .actual_access:  read_only
        .address_space:  global
        .offset:         32
        .size:           8
        .value_kind:     global_buffer
      - .offset:         40
        .size:           8
        .value_kind:     by_value
      - .actual_access:  read_only
        .address_space:  global
        .offset:         48
        .size:           8
        .value_kind:     global_buffer
      - .actual_access:  read_only
        .address_space:  global
        .offset:         56
        .size:           8
        .value_kind:     global_buffer
      - .offset:         64
        .size:           4
        .value_kind:     by_value
      - .actual_access:  read_only
        .address_space:  global
        .offset:         72
        .size:           8
        .value_kind:     global_buffer
      - .actual_access:  read_only
        .address_space:  global
        .offset:         80
        .size:           8
        .value_kind:     global_buffer
      - .actual_access:  read_only
        .address_space:  global
        .offset:         88
        .size:           8
        .value_kind:     global_buffer
      - .actual_access:  write_only
        .address_space:  global
        .offset:         96
        .size:           8
        .value_kind:     global_buffer
    .group_segment_fixed_size: 0
    .kernarg_segment_align: 8
    .kernarg_segment_size: 104
    .language:       OpenCL C
    .language_version:
      - 2
      - 0
    .max_flat_workgroup_size: 250
    .name:           fft_rtc_fwd_len1875_factors_5_5_5_5_3_wgs_250_tpt_125_halfLds_sp_op_CI_CI_sbrr_dirReg
    .private_segment_fixed_size: 0
    .sgpr_count:     38
    .sgpr_spill_count: 0
    .symbol:         fft_rtc_fwd_len1875_factors_5_5_5_5_3_wgs_250_tpt_125_halfLds_sp_op_CI_CI_sbrr_dirReg.kd
    .uniform_work_group_size: 1
    .uses_dynamic_stack: false
    .vgpr_count:     77
    .vgpr_spill_count: 0
    .wavefront_size: 64
amdhsa.target:   amdgcn-amd-amdhsa--gfx950
amdhsa.version:
  - 1
  - 2
...

	.end_amdgpu_metadata
